;; amdgpu-corpus repo=llvm/llvm-project kind=harvested arch=n/a opt=n/a
// NOTE: Assertions have been autogenerated by utils/update_mc_test_checks.py UTC_ARGS: --version 6
// RUN: llvm-mc -triple=amdgcn -mcpu=gfx1310 -show-encoding < %s | FileCheck -check-prefix=GFX13 %s
// RUN: llvm-mc -triple=amdgcn -mcpu=gfx1310 -show-encoding < %s | %extract-encodings | llvm-mc -triple=amdgcn -mcpu=gfx1310 -disassemble -show-encoding | FileCheck -check-prefix=GFX13 %s
// RUN: not llvm-mc -triple=amdgcn -mcpu=gfx1250 -show-encoding -filetype=null %s 2>&1 | FileCheck --check-prefix=GFX1250-ERR --strict-whitespace %s

buffer_load_b32 v5, off, s[8:11], s3 offset:8388607
// GFX13: buffer_load_b32 v5, off, s[8:11], s3 offset:8388607 ; encoding: [0x03,0x00,0x03,0xc4,0x05,0x10,0x80,0x00,0x00,0xff,0xff,0x7f]

buffer_load_b32 v255, off, s[8:11], s3 offset:8388607
// GFX13: buffer_load_b32 v255, off, s[8:11], s3 offset:8388607 ; encoding: [0x03,0x00,0x03,0xc4,0xff,0x10,0x80,0x00,0x00,0xff,0xff,0x7f]

buffer_load_b32 v5, off, s[12:15], s3 offset:8388607
// GFX13: buffer_load_b32 v5, off, s[12:15], s3 offset:8388607 ; encoding: [0x03,0x00,0x03,0xc4,0x05,0x18,0x80,0x00,0x00,0xff,0xff,0x7f]

buffer_load_b32 v5, off, s[96:99], s3 offset:8388607
// GFX13: buffer_load_b32 v5, off, s[96:99], s3 offset:8388607 ; encoding: [0x03,0x00,0x03,0xc4,0x05,0xc0,0x80,0x00,0x00,0xff,0xff,0x7f]

buffer_load_b32 v5, off, s[8:11], s101 offset:8388607
// GFX13: buffer_load_b32 v5, off, s[8:11], s101 offset:8388607 ; encoding: [0x65,0x00,0x03,0xc4,0x05,0x10,0x80,0x00,0x00,0xff,0xff,0x7f]

buffer_load_b32 v5, off, s[8:11], m0 offset:8388607
// GFX13: buffer_load_b32 v5, off, s[8:11], m0 offset:8388607 ; encoding: [0x7d,0x00,0x03,0xc4,0x05,0x10,0x80,0x00,0x00,0xff,0xff,0x7f]

buffer_load_b32 v5, v0, s[8:11], s3 idxen offset:8388607
// GFX13: buffer_load_b32 v5, v0, s[8:11], s3 idxen offset:8388607 ; encoding: [0x03,0x00,0x03,0xc4,0x05,0x10,0x80,0x80,0x00,0xff,0xff,0x7f]

buffer_load_b32 v5, v0, s[8:11], s3 offen offset:8388607
// GFX13: buffer_load_b32 v5, v0, s[8:11], s3 offen offset:8388607 ; encoding: [0x03,0x00,0x03,0xc4,0x05,0x10,0x80,0x40,0x00,0xff,0xff,0x7f]

buffer_load_b32 v5, off, s[8:11], s3
// GFX13: buffer_load_b32 v5, off, s[8:11], s3    ; encoding: [0x03,0x00,0x03,0xc4,0x05,0x10,0x80,0x00,0x00,0x00,0x00,0x00]

buffer_load_b32 v5, off, s[8:11], s3 offset:0
// GFX13: buffer_load_b32 v5, off, s[8:11], s3    ; encoding: [0x03,0x00,0x03,0xc4,0x05,0x10,0x80,0x00,0x00,0x00,0x00,0x00]

buffer_load_b32 v5, off, s[8:11], s3 offset:7
// GFX13: buffer_load_b32 v5, off, s[8:11], s3 offset:7 ; encoding: [0x03,0x00,0x03,0xc4,0x05,0x10,0x80,0x00,0x00,0x07,0x00,0x00]

buffer_load_b32 v5, off, s[8:11], s3 offset:8388607 th:TH_LOAD_NT_HT scope:SCOPE_DEV
// GFX13: buffer_load_b32 v5, off, s[8:11], s3 offset:8388607 th:TH_LOAD_NT_HT scope:SCOPE_DEV ; encoding: [0x03,0x00,0x03,0xc4,0x05,0x10,0xe8,0x00,0x00,0xff,0xff,0x7f]

buffer_load_b64 v[5:6], off, s[8:11], s3 offset:8388607
// GFX1250-ERR: :[[@LINE-1]]:17: error: invalid operand for instruction
// GFX13: buffer_load_b64 v[5:6], off, s[8:11], s3 offset:8388607 ; encoding: [0x03,0x40,0x03,0xc4,0x05,0x10,0x80,0x00,0x00,0xff,0xff,0x7f]

buffer_load_b64 v[254:255], off, s[8:11], s3 offset:8388607
// GFX13: buffer_load_b64 v[254:255], off, s[8:11], s3 offset:8388607 ; encoding: [0x03,0x40,0x03,0xc4,0xfe,0x10,0x80,0x00,0x00,0xff,0xff,0x7f]

buffer_load_b64 v[5:6], off, s[12:15], s3 offset:8388607
// GFX1250-ERR: :[[@LINE-1]]:17: error: invalid operand for instruction
// GFX13: buffer_load_b64 v[5:6], off, s[12:15], s3 offset:8388607 ; encoding: [0x03,0x40,0x03,0xc4,0x05,0x18,0x80,0x00,0x00,0xff,0xff,0x7f]

buffer_load_b64 v[5:6], off, s[96:99], s3 offset:8388607
// GFX1250-ERR: :[[@LINE-1]]:17: error: invalid operand for instruction
	;; [unrolled: 4-line block ×4, first 2 shown]
// GFX13: buffer_load_b64 v[5:6], off, s[8:11], m0 offset:8388607 ; encoding: [0x7d,0x40,0x03,0xc4,0x05,0x10,0x80,0x00,0x00,0xff,0xff,0x7f]

buffer_load_b64 v[5:6], v0, s[8:11], s3 idxen offset:8388607
// GFX1250-ERR: :[[@LINE-1]]:17: error: invalid operand for instruction
// GFX13: buffer_load_b64 v[5:6], v0, s[8:11], s3 idxen offset:8388607 ; encoding: [0x03,0x40,0x03,0xc4,0x05,0x10,0x80,0x80,0x00,0xff,0xff,0x7f]

buffer_load_b64 v[5:6], v0, s[8:11], s3 offen offset:8388607
// GFX1250-ERR: :[[@LINE-1]]:17: error: invalid operand for instruction
// GFX13: buffer_load_b64 v[5:6], v0, s[8:11], s3 offen offset:8388607 ; encoding: [0x03,0x40,0x03,0xc4,0x05,0x10,0x80,0x40,0x00,0xff,0xff,0x7f]

buffer_load_b64 v[5:6], off, s[8:11], s3
// GFX1250-ERR: :[[@LINE-1]]:17: error: invalid operand for instruction
// GFX13: buffer_load_b64 v[5:6], off, s[8:11], s3 ; encoding: [0x03,0x40,0x03,0xc4,0x05,0x10,0x80,0x00,0x00,0x00,0x00,0x00]

buffer_load_b64 v[5:6], off, s[8:11], s3 offset:0
// GFX1250-ERR: :[[@LINE-1]]:17: error: invalid operand for instruction
// GFX13: buffer_load_b64 v[5:6], off, s[8:11], s3 ; encoding: [0x03,0x40,0x03,0xc4,0x05,0x10,0x80,0x00,0x00,0x00,0x00,0x00]

buffer_load_b64 v[5:6], off, s[8:11], s3 offset:7
// GFX1250-ERR: :[[@LINE-1]]:17: error: invalid operand for instruction
// GFX13: buffer_load_b64 v[5:6], off, s[8:11], s3 offset:7 ; encoding: [0x03,0x40,0x03,0xc4,0x05,0x10,0x80,0x00,0x00,0x07,0x00,0x00]

buffer_load_b64 v[5:6], off, s[8:11], s3 offset:8388607 th:TH_LOAD_NT_HT scope:SCOPE_DEV
// GFX1250-ERR: :[[@LINE-1]]:17: error: invalid operand for instruction
// GFX13: buffer_load_b64 v[5:6], off, s[8:11], s3 offset:8388607 th:TH_LOAD_NT_HT scope:SCOPE_DEV ; encoding: [0x03,0x40,0x03,0xc4,0x05,0x10,0xe8,0x00,0x00,0xff,0xff,0x7f]

buffer_load_b64 v[5:6], off, s[8:11], s3 offset:8388607 th:TH_LOAD_BYPASS scope:SCOPE_SYS
// GFX1250-ERR: :[[@LINE-1]]:17: error: invalid operand for instruction
// GFX13: buffer_load_b64 v[5:6], off, s[8:11], s3 offset:8388607 th:TH_LOAD_BYPASS scope:SCOPE_SYS ; encoding: [0x03,0x40,0x03,0xc4,0x05,0x10,0xbc,0x00,0x00,0xff,0xff,0x7f]

buffer_load_b96 v[5:7], off, s[8:11], s3 offset:8388607
// GFX1250-ERR: :[[@LINE-1]]:17: error: invalid operand for instruction
// GFX13: buffer_load_b96 v[5:7], off, s[8:11], s3 offset:8388607 ; encoding: [0x03,0xc0,0x03,0xc4,0x05,0x10,0x80,0x00,0x00,0xff,0xff,0x7f]

buffer_load_b96 v[253:255], off, s[8:11], s3 offset:8388607
// GFX1250-ERR: :[[@LINE-1]]:17: error: invalid operand for instruction
// GFX13: buffer_load_b96 v[253:255], off, s[8:11], s3 offset:8388607 ; encoding: [0x03,0xc0,0x03,0xc4,0xfd,0x10,0x80,0x00,0x00,0xff,0xff,0x7f]
	;; [unrolled: 4-line block ×6, first 2 shown]

buffer_load_b96 v[5:7], v0, s[8:11], s3 idxen offset:8388607
// GFX1250-ERR: :[[@LINE-1]]:17: error: invalid operand for instruction
// GFX13: buffer_load_b96 v[5:7], v0, s[8:11], s3 idxen offset:8388607 ; encoding: [0x03,0xc0,0x03,0xc4,0x05,0x10,0x80,0x80,0x00,0xff,0xff,0x7f]

buffer_load_b96 v[5:7], v0, s[8:11], s3 offen offset:8388607
// GFX1250-ERR: :[[@LINE-1]]:17: error: invalid operand for instruction
// GFX13: buffer_load_b96 v[5:7], v0, s[8:11], s3 offen offset:8388607 ; encoding: [0x03,0xc0,0x03,0xc4,0x05,0x10,0x80,0x40,0x00,0xff,0xff,0x7f]

buffer_load_b96 v[5:7], off, s[8:11], s3
// GFX1250-ERR: :[[@LINE-1]]:17: error: invalid operand for instruction
// GFX13: buffer_load_b96 v[5:7], off, s[8:11], s3 ; encoding: [0x03,0xc0,0x03,0xc4,0x05,0x10,0x80,0x00,0x00,0x00,0x00,0x00]

buffer_load_b96 v[5:7], off, s[8:11], s3 offset:0
// GFX1250-ERR: :[[@LINE-1]]:17: error: invalid operand for instruction
// GFX13: buffer_load_b96 v[5:7], off, s[8:11], s3 ; encoding: [0x03,0xc0,0x03,0xc4,0x05,0x10,0x80,0x00,0x00,0x00,0x00,0x00]

buffer_load_b96 v[5:7], off, s[8:11], s3 offset:7
// GFX1250-ERR: :[[@LINE-1]]:17: error: invalid operand for instruction
// GFX13: buffer_load_b96 v[5:7], off, s[8:11], s3 offset:7 ; encoding: [0x03,0xc0,0x03,0xc4,0x05,0x10,0x80,0x00,0x00,0x07,0x00,0x00]

buffer_load_b96 v[5:7], off, s[8:11], s3 offset:8388607 th:TH_LOAD_NT_HT scope:SCOPE_DEV
// GFX1250-ERR: :[[@LINE-1]]:17: error: invalid operand for instruction
// GFX13: buffer_load_b96 v[5:7], off, s[8:11], s3 offset:8388607 th:TH_LOAD_NT_HT scope:SCOPE_DEV ; encoding: [0x03,0xc0,0x03,0xc4,0x05,0x10,0xe8,0x00,0x00,0xff,0xff,0x7f]

buffer_load_b96 v[5:7], off, s[8:11], s3 offset:8388607 th:TH_LOAD_BYPASS scope:SCOPE_SYS
// GFX1250-ERR: :[[@LINE-1]]:17: error: invalid operand for instruction
// GFX13: buffer_load_b96 v[5:7], off, s[8:11], s3 offset:8388607 th:TH_LOAD_BYPASS scope:SCOPE_SYS ; encoding: [0x03,0xc0,0x03,0xc4,0x05,0x10,0xbc,0x00,0x00,0xff,0xff,0x7f]

buffer_load_b128 v[5:8], off, s[8:11], s3 offset:8388607
// GFX1250-ERR: :[[@LINE-1]]:18: error: invalid operand for instruction
// GFX13: buffer_load_b128 v[5:8], off, s[8:11], s3 offset:8388607 ; encoding: [0x03,0x80,0x03,0xc4,0x05,0x10,0x80,0x00,0x00,0xff,0xff,0x7f]

buffer_load_b128 v[252:255], off, s[8:11], s3 offset:8388607
// GFX13: buffer_load_b128 v[252:255], off, s[8:11], s3 offset:8388607 ; encoding: [0x03,0x80,0x03,0xc4,0xfc,0x10,0x80,0x00,0x00,0xff,0xff,0x7f]

buffer_load_b128 v[5:8], off, s[12:15], s3 offset:8388607
// GFX1250-ERR: :[[@LINE-1]]:18: error: invalid operand for instruction
// GFX13: buffer_load_b128 v[5:8], off, s[12:15], s3 offset:8388607 ; encoding: [0x03,0x80,0x03,0xc4,0x05,0x18,0x80,0x00,0x00,0xff,0xff,0x7f]

buffer_load_b128 v[5:8], off, s[96:99], s3 offset:8388607
// GFX1250-ERR: :[[@LINE-1]]:18: error: invalid operand for instruction
	;; [unrolled: 4-line block ×4, first 2 shown]
// GFX13: buffer_load_b128 v[5:8], off, s[8:11], m0 offset:8388607 ; encoding: [0x7d,0x80,0x03,0xc4,0x05,0x10,0x80,0x00,0x00,0xff,0xff,0x7f]

buffer_load_b128 v[5:8], v0, s[8:11], s3 idxen offset:8388607
// GFX1250-ERR: :[[@LINE-1]]:18: error: invalid operand for instruction
// GFX13: buffer_load_b128 v[5:8], v0, s[8:11], s3 idxen offset:8388607 ; encoding: [0x03,0x80,0x03,0xc4,0x05,0x10,0x80,0x80,0x00,0xff,0xff,0x7f]

buffer_load_b128 v[5:8], v0, s[8:11], s3 offen offset:8388607
// GFX1250-ERR: :[[@LINE-1]]:18: error: invalid operand for instruction
// GFX13: buffer_load_b128 v[5:8], v0, s[8:11], s3 offen offset:8388607 ; encoding: [0x03,0x80,0x03,0xc4,0x05,0x10,0x80,0x40,0x00,0xff,0xff,0x7f]

buffer_load_b128 v[5:8], off, s[8:11], s3
// GFX1250-ERR: :[[@LINE-1]]:18: error: invalid operand for instruction
// GFX13: buffer_load_b128 v[5:8], off, s[8:11], s3 ; encoding: [0x03,0x80,0x03,0xc4,0x05,0x10,0x80,0x00,0x00,0x00,0x00,0x00]

buffer_load_b128 v[5:8], off, s[8:11], s3 offset:0
// GFX1250-ERR: :[[@LINE-1]]:18: error: invalid operand for instruction
// GFX13: buffer_load_b128 v[5:8], off, s[8:11], s3 ; encoding: [0x03,0x80,0x03,0xc4,0x05,0x10,0x80,0x00,0x00,0x00,0x00,0x00]

buffer_load_b128 v[5:8], off, s[8:11], s3 offset:7
// GFX1250-ERR: :[[@LINE-1]]:18: error: invalid operand for instruction
// GFX13: buffer_load_b128 v[5:8], off, s[8:11], s3 offset:7 ; encoding: [0x03,0x80,0x03,0xc4,0x05,0x10,0x80,0x00,0x00,0x07,0x00,0x00]

buffer_load_b128 v[5:8], off, s[8:11], s3 offset:8388607 th:TH_LOAD_NT_HT scope:SCOPE_DEV
// GFX1250-ERR: :[[@LINE-1]]:18: error: invalid operand for instruction
// GFX13: buffer_load_b128 v[5:8], off, s[8:11], s3 offset:8388607 th:TH_LOAD_NT_HT scope:SCOPE_DEV ; encoding: [0x03,0x80,0x03,0xc4,0x05,0x10,0xe8,0x00,0x00,0xff,0xff,0x7f]

buffer_load_b128 v[5:8], off, s[8:11], s3 offset:8388607 th:TH_LOAD_BYPASS scope:SCOPE_SYS
// GFX1250-ERR: :[[@LINE-1]]:18: error: invalid operand for instruction
// GFX13: buffer_load_b128 v[5:8], off, s[8:11], s3 offset:8388607 th:TH_LOAD_BYPASS scope:SCOPE_SYS ; encoding: [0x03,0x80,0x03,0xc4,0x05,0x10,0xbc,0x00,0x00,0xff,0xff,0x7f]

buffer_load_d16_b16 v5, off, s[8:11], s3 offset:8388607
// GFX13: buffer_load_d16_b16 v5, off, s[8:11], s3 offset:8388607 ; encoding: [0x03,0x00,0x09,0xc4,0x05,0x10,0x80,0x00,0x00,0xff,0xff,0x7f]

buffer_load_d16_b16 v255, off, s[8:11], s3 offset:8388607
// GFX13: buffer_load_d16_b16 v255, off, s[8:11], s3 offset:8388607 ; encoding: [0x03,0x00,0x09,0xc4,0xff,0x10,0x80,0x00,0x00,0xff,0xff,0x7f]
	;; [unrolled: 3-line block ×6, first 2 shown]

buffer_load_d16_b16 v5, v0, s[8:11], s3 idxen offset:8388607
// GFX13: buffer_load_d16_b16 v5, v0, s[8:11], s3 idxen offset:8388607 ; encoding: [0x03,0x00,0x09,0xc4,0x05,0x10,0x80,0x80,0x00,0xff,0xff,0x7f]

buffer_load_d16_b16 v5, v0, s[8:11], s3 offen offset:8388607
// GFX13: buffer_load_d16_b16 v5, v0, s[8:11], s3 offen offset:8388607 ; encoding: [0x03,0x00,0x09,0xc4,0x05,0x10,0x80,0x40,0x00,0xff,0xff,0x7f]

buffer_load_d16_b16 v5, off, s[8:11], s3
// GFX13: buffer_load_d16_b16 v5, off, s[8:11], s3 ; encoding: [0x03,0x00,0x09,0xc4,0x05,0x10,0x80,0x00,0x00,0x00,0x00,0x00]

buffer_load_d16_b16 v5, off, s[8:11], s3 offset:0
// GFX13: buffer_load_d16_b16 v5, off, s[8:11], s3 ; encoding: [0x03,0x00,0x09,0xc4,0x05,0x10,0x80,0x00,0x00,0x00,0x00,0x00]

buffer_load_d16_b16 v5, off, s[8:11], s3 offset:7
// GFX13: buffer_load_d16_b16 v5, off, s[8:11], s3 offset:7 ; encoding: [0x03,0x00,0x09,0xc4,0x05,0x10,0x80,0x00,0x00,0x07,0x00,0x00]

buffer_load_d16_b16 v5, off, s[8:11], s3 offset:8388607 th:TH_LOAD_NT_HT scope:SCOPE_DEV
// GFX13: buffer_load_d16_b16 v5, off, s[8:11], s3 offset:8388607 th:TH_LOAD_NT_HT scope:SCOPE_DEV ; encoding: [0x03,0x00,0x09,0xc4,0x05,0x10,0xe8,0x00,0x00,0xff,0xff,0x7f]

buffer_load_d16_b16 v5, off, s[8:11], s3 offset:8388607 th:TH_LOAD_BYPASS scope:SCOPE_SYS
// GFX13: buffer_load_d16_b16 v5, off, s[8:11], s3 offset:8388607 th:TH_LOAD_BYPASS scope:SCOPE_SYS ; encoding: [0x03,0x00,0x09,0xc4,0x05,0x10,0xbc,0x00,0x00,0xff,0xff,0x7f]

buffer_load_d16_hi_b16 v5, off, s[8:11], s3 offset:8388607
// GFX13: buffer_load_d16_hi_b16 v5, off, s[8:11], s3 offset:8388607 ; encoding: [0x03,0x40,0x09,0xc4,0x05,0x10,0x80,0x00,0x00,0xff,0xff,0x7f]

buffer_load_d16_hi_b16 v255, off, s[8:11], s3 offset:8388607
// GFX13: buffer_load_d16_hi_b16 v255, off, s[8:11], s3 offset:8388607 ; encoding: [0x03,0x40,0x09,0xc4,0xff,0x10,0x80,0x00,0x00,0xff,0xff,0x7f]
	;; [unrolled: 3-line block ×6, first 2 shown]

buffer_load_d16_hi_b16 v5, v0, s[8:11], s3 idxen offset:8388607
// GFX13: buffer_load_d16_hi_b16 v5, v0, s[8:11], s3 idxen offset:8388607 ; encoding: [0x03,0x40,0x09,0xc4,0x05,0x10,0x80,0x80,0x00,0xff,0xff,0x7f]

buffer_load_d16_hi_b16 v5, v0, s[8:11], s3 offen offset:8388607
// GFX13: buffer_load_d16_hi_b16 v5, v0, s[8:11], s3 offen offset:8388607 ; encoding: [0x03,0x40,0x09,0xc4,0x05,0x10,0x80,0x40,0x00,0xff,0xff,0x7f]

buffer_load_d16_hi_b16 v5, off, s[8:11], s3
// GFX13: buffer_load_d16_hi_b16 v5, off, s[8:11], s3 ; encoding: [0x03,0x40,0x09,0xc4,0x05,0x10,0x80,0x00,0x00,0x00,0x00,0x00]

buffer_load_d16_hi_b16 v5, off, s[8:11], s3 offset:0
// GFX13: buffer_load_d16_hi_b16 v5, off, s[8:11], s3 ; encoding: [0x03,0x40,0x09,0xc4,0x05,0x10,0x80,0x00,0x00,0x00,0x00,0x00]

buffer_load_d16_hi_b16 v5, off, s[8:11], s3 offset:7
// GFX13: buffer_load_d16_hi_b16 v5, off, s[8:11], s3 offset:7 ; encoding: [0x03,0x40,0x09,0xc4,0x05,0x10,0x80,0x00,0x00,0x07,0x00,0x00]

buffer_load_d16_hi_b16 v5, off, s[8:11], s3 offset:8388607 th:TH_LOAD_NT_HT scope:SCOPE_DEV
// GFX13: buffer_load_d16_hi_b16 v5, off, s[8:11], s3 offset:8388607 th:TH_LOAD_NT_HT scope:SCOPE_DEV ; encoding: [0x03,0x40,0x09,0xc4,0x05,0x10,0xe8,0x00,0x00,0xff,0xff,0x7f]

buffer_load_d16_hi_b16 v5, off, s[8:11], s3 offset:8388607 th:TH_LOAD_BYPASS scope:SCOPE_SYS
// GFX13: buffer_load_d16_hi_b16 v5, off, s[8:11], s3 offset:8388607 th:TH_LOAD_BYPASS scope:SCOPE_SYS ; encoding: [0x03,0x40,0x09,0xc4,0x05,0x10,0xbc,0x00,0x00,0xff,0xff,0x7f]

buffer_load_d16_hi_i8 v5, off, s[8:11], s3 offset:8388607
// GFX13: buffer_load_d16_hi_i8 v5, off, s[8:11], s3 offset:8388607 ; encoding: [0x03,0xc0,0x08,0xc4,0x05,0x10,0x80,0x00,0x00,0xff,0xff,0x7f]

buffer_load_d16_hi_i8 v255, off, s[8:11], s3 offset:8388607
// GFX13: buffer_load_d16_hi_i8 v255, off, s[8:11], s3 offset:8388607 ; encoding: [0x03,0xc0,0x08,0xc4,0xff,0x10,0x80,0x00,0x00,0xff,0xff,0x7f]
	;; [unrolled: 3-line block ×6, first 2 shown]

buffer_load_d16_hi_i8 v5, v0, s[8:11], s3 idxen offset:8388607
// GFX13: buffer_load_d16_hi_i8 v5, v0, s[8:11], s3 idxen offset:8388607 ; encoding: [0x03,0xc0,0x08,0xc4,0x05,0x10,0x80,0x80,0x00,0xff,0xff,0x7f]

buffer_load_d16_hi_i8 v5, v0, s[8:11], s3 offen offset:8388607
// GFX13: buffer_load_d16_hi_i8 v5, v0, s[8:11], s3 offen offset:8388607 ; encoding: [0x03,0xc0,0x08,0xc4,0x05,0x10,0x80,0x40,0x00,0xff,0xff,0x7f]

buffer_load_d16_hi_i8 v5, off, s[8:11], s3
// GFX13: buffer_load_d16_hi_i8 v5, off, s[8:11], s3 ; encoding: [0x03,0xc0,0x08,0xc4,0x05,0x10,0x80,0x00,0x00,0x00,0x00,0x00]

buffer_load_d16_hi_i8 v5, off, s[8:11], s3 offset:0
// GFX13: buffer_load_d16_hi_i8 v5, off, s[8:11], s3 ; encoding: [0x03,0xc0,0x08,0xc4,0x05,0x10,0x80,0x00,0x00,0x00,0x00,0x00]

buffer_load_d16_hi_i8 v5, off, s[8:11], s3 offset:7
// GFX13: buffer_load_d16_hi_i8 v5, off, s[8:11], s3 offset:7 ; encoding: [0x03,0xc0,0x08,0xc4,0x05,0x10,0x80,0x00,0x00,0x07,0x00,0x00]

buffer_load_d16_hi_i8 v5, off, s[8:11], s3 offset:8388607 th:TH_LOAD_NT_HT scope:SCOPE_DEV
// GFX13: buffer_load_d16_hi_i8 v5, off, s[8:11], s3 offset:8388607 th:TH_LOAD_NT_HT scope:SCOPE_DEV ; encoding: [0x03,0xc0,0x08,0xc4,0x05,0x10,0xe8,0x00,0x00,0xff,0xff,0x7f]

buffer_load_d16_hi_i8 v5, off, s[8:11], s3 offset:8388607 th:TH_LOAD_BYPASS scope:SCOPE_SYS
// GFX13: buffer_load_d16_hi_i8 v5, off, s[8:11], s3 offset:8388607 th:TH_LOAD_BYPASS scope:SCOPE_SYS ; encoding: [0x03,0xc0,0x08,0xc4,0x05,0x10,0xbc,0x00,0x00,0xff,0xff,0x7f]

buffer_load_d16_hi_u8 v5, off, s[8:11], s3 offset:8388607
// GFX13: buffer_load_d16_hi_u8 v5, off, s[8:11], s3 offset:8388607 ; encoding: [0x03,0x40,0x08,0xc4,0x05,0x10,0x80,0x00,0x00,0xff,0xff,0x7f]

buffer_load_d16_hi_u8 v255, off, s[8:11], s3 offset:8388607
// GFX13: buffer_load_d16_hi_u8 v255, off, s[8:11], s3 offset:8388607 ; encoding: [0x03,0x40,0x08,0xc4,0xff,0x10,0x80,0x00,0x00,0xff,0xff,0x7f]
	;; [unrolled: 3-line block ×6, first 2 shown]

buffer_load_d16_hi_u8 v5, v0, s[8:11], s3 idxen offset:8388607
// GFX13: buffer_load_d16_hi_u8 v5, v0, s[8:11], s3 idxen offset:8388607 ; encoding: [0x03,0x40,0x08,0xc4,0x05,0x10,0x80,0x80,0x00,0xff,0xff,0x7f]

buffer_load_d16_hi_u8 v5, v0, s[8:11], s3 offen offset:8388607
// GFX13: buffer_load_d16_hi_u8 v5, v0, s[8:11], s3 offen offset:8388607 ; encoding: [0x03,0x40,0x08,0xc4,0x05,0x10,0x80,0x40,0x00,0xff,0xff,0x7f]

buffer_load_d16_hi_u8 v5, off, s[8:11], s3
// GFX13: buffer_load_d16_hi_u8 v5, off, s[8:11], s3 ; encoding: [0x03,0x40,0x08,0xc4,0x05,0x10,0x80,0x00,0x00,0x00,0x00,0x00]

buffer_load_d16_hi_u8 v5, off, s[8:11], s3 offset:0
// GFX13: buffer_load_d16_hi_u8 v5, off, s[8:11], s3 ; encoding: [0x03,0x40,0x08,0xc4,0x05,0x10,0x80,0x00,0x00,0x00,0x00,0x00]

buffer_load_d16_hi_u8 v5, off, s[8:11], s3 offset:7
// GFX13: buffer_load_d16_hi_u8 v5, off, s[8:11], s3 offset:7 ; encoding: [0x03,0x40,0x08,0xc4,0x05,0x10,0x80,0x00,0x00,0x07,0x00,0x00]

buffer_load_d16_hi_u8 v5, off, s[8:11], s3 offset:8388607 th:TH_LOAD_NT_HT scope:SCOPE_DEV
// GFX13: buffer_load_d16_hi_u8 v5, off, s[8:11], s3 offset:8388607 th:TH_LOAD_NT_HT scope:SCOPE_DEV ; encoding: [0x03,0x40,0x08,0xc4,0x05,0x10,0xe8,0x00,0x00,0xff,0xff,0x7f]

buffer_load_d16_hi_u8 v5, off, s[8:11], s3 offset:8388607 th:TH_LOAD_BYPASS scope:SCOPE_SYS
// GFX13: buffer_load_d16_hi_u8 v5, off, s[8:11], s3 offset:8388607 th:TH_LOAD_BYPASS scope:SCOPE_SYS ; encoding: [0x03,0x40,0x08,0xc4,0x05,0x10,0xbc,0x00,0x00,0xff,0xff,0x7f]

buffer_load_d16_i8 v5, off, s[8:11], s3 offset:8388607
// GFX13: buffer_load_d16_i8 v5, off, s[8:11], s3 offset:8388607 ; encoding: [0x03,0x80,0x08,0xc4,0x05,0x10,0x80,0x00,0x00,0xff,0xff,0x7f]

buffer_load_d16_i8 v255, off, s[8:11], s3 offset:8388607
// GFX13: buffer_load_d16_i8 v255, off, s[8:11], s3 offset:8388607 ; encoding: [0x03,0x80,0x08,0xc4,0xff,0x10,0x80,0x00,0x00,0xff,0xff,0x7f]
	;; [unrolled: 3-line block ×6, first 2 shown]

buffer_load_d16_i8 v5, v0, s[8:11], s3 idxen offset:8388607
// GFX13: buffer_load_d16_i8 v5, v0, s[8:11], s3 idxen offset:8388607 ; encoding: [0x03,0x80,0x08,0xc4,0x05,0x10,0x80,0x80,0x00,0xff,0xff,0x7f]

buffer_load_d16_i8 v5, v0, s[8:11], s3 offen offset:8388607
// GFX13: buffer_load_d16_i8 v5, v0, s[8:11], s3 offen offset:8388607 ; encoding: [0x03,0x80,0x08,0xc4,0x05,0x10,0x80,0x40,0x00,0xff,0xff,0x7f]

buffer_load_d16_i8 v5, off, s[8:11], s3
// GFX13: buffer_load_d16_i8 v5, off, s[8:11], s3 ; encoding: [0x03,0x80,0x08,0xc4,0x05,0x10,0x80,0x00,0x00,0x00,0x00,0x00]

buffer_load_d16_i8 v5, off, s[8:11], s3 offset:0
// GFX13: buffer_load_d16_i8 v5, off, s[8:11], s3 ; encoding: [0x03,0x80,0x08,0xc4,0x05,0x10,0x80,0x00,0x00,0x00,0x00,0x00]

buffer_load_d16_i8 v5, off, s[8:11], s3 offset:7
// GFX13: buffer_load_d16_i8 v5, off, s[8:11], s3 offset:7 ; encoding: [0x03,0x80,0x08,0xc4,0x05,0x10,0x80,0x00,0x00,0x07,0x00,0x00]

buffer_load_d16_i8 v5, off, s[8:11], s3 offset:8388607 th:TH_LOAD_NT_HT scope:SCOPE_DEV
// GFX13: buffer_load_d16_i8 v5, off, s[8:11], s3 offset:8388607 th:TH_LOAD_NT_HT scope:SCOPE_DEV ; encoding: [0x03,0x80,0x08,0xc4,0x05,0x10,0xe8,0x00,0x00,0xff,0xff,0x7f]

buffer_load_d16_i8 v5, off, s[8:11], s3 offset:8388607 th:TH_LOAD_BYPASS scope:SCOPE_SYS
// GFX13: buffer_load_d16_i8 v5, off, s[8:11], s3 offset:8388607 th:TH_LOAD_BYPASS scope:SCOPE_SYS ; encoding: [0x03,0x80,0x08,0xc4,0x05,0x10,0xbc,0x00,0x00,0xff,0xff,0x7f]

buffer_load_d16_u8 v5, off, s[8:11], s3 offset:8388607
// GFX13: buffer_load_d16_u8 v5, off, s[8:11], s3 offset:8388607 ; encoding: [0x03,0x00,0x08,0xc4,0x05,0x10,0x80,0x00,0x00,0xff,0xff,0x7f]

buffer_load_d16_u8 v255, off, s[8:11], s3 offset:8388607
// GFX13: buffer_load_d16_u8 v255, off, s[8:11], s3 offset:8388607 ; encoding: [0x03,0x00,0x08,0xc4,0xff,0x10,0x80,0x00,0x00,0xff,0xff,0x7f]
	;; [unrolled: 3-line block ×6, first 2 shown]

buffer_load_d16_u8 v5, v0, s[8:11], s3 idxen offset:8388607
// GFX13: buffer_load_d16_u8 v5, v0, s[8:11], s3 idxen offset:8388607 ; encoding: [0x03,0x00,0x08,0xc4,0x05,0x10,0x80,0x80,0x00,0xff,0xff,0x7f]

buffer_load_d16_u8 v5, v0, s[8:11], s3 offen offset:8388607
// GFX13: buffer_load_d16_u8 v5, v0, s[8:11], s3 offen offset:8388607 ; encoding: [0x03,0x00,0x08,0xc4,0x05,0x10,0x80,0x40,0x00,0xff,0xff,0x7f]

buffer_load_d16_u8 v5, off, s[8:11], s3
// GFX13: buffer_load_d16_u8 v5, off, s[8:11], s3 ; encoding: [0x03,0x00,0x08,0xc4,0x05,0x10,0x80,0x00,0x00,0x00,0x00,0x00]

buffer_load_d16_u8 v5, off, s[8:11], s3 offset:0
// GFX13: buffer_load_d16_u8 v5, off, s[8:11], s3 ; encoding: [0x03,0x00,0x08,0xc4,0x05,0x10,0x80,0x00,0x00,0x00,0x00,0x00]

buffer_load_d16_u8 v5, off, s[8:11], s3 offset:7
// GFX13: buffer_load_d16_u8 v5, off, s[8:11], s3 offset:7 ; encoding: [0x03,0x00,0x08,0xc4,0x05,0x10,0x80,0x00,0x00,0x07,0x00,0x00]

buffer_load_d16_u8 v5, off, s[8:11], s3 offset:8388607 th:TH_LOAD_NT_HT scope:SCOPE_DEV
// GFX13: buffer_load_d16_u8 v5, off, s[8:11], s3 offset:8388607 th:TH_LOAD_NT_HT scope:SCOPE_DEV ; encoding: [0x03,0x00,0x08,0xc4,0x05,0x10,0xe8,0x00,0x00,0xff,0xff,0x7f]

buffer_load_d16_u8 v5, off, s[8:11], s3 offset:8388607 th:TH_LOAD_BYPASS scope:SCOPE_SYS
// GFX13: buffer_load_d16_u8 v5, off, s[8:11], s3 offset:8388607 th:TH_LOAD_BYPASS scope:SCOPE_SYS ; encoding: [0x03,0x00,0x08,0xc4,0x05,0x10,0xbc,0x00,0x00,0xff,0xff,0x7f]

buffer_load_i8 v5, off, s[8:11], s3 offset:8388607
// GFX13: buffer_load_i8 v5, off, s[8:11], s3 offset:8388607 ; encoding: [0x03,0x40,0x02,0xc4,0x05,0x10,0x80,0x00,0x00,0xff,0xff,0x7f]

buffer_load_i8 v255, off, s[8:11], s3 offset:8388607
// GFX13: buffer_load_i8 v255, off, s[8:11], s3 offset:8388607 ; encoding: [0x03,0x40,0x02,0xc4,0xff,0x10,0x80,0x00,0x00,0xff,0xff,0x7f]
	;; [unrolled: 3-line block ×6, first 2 shown]

buffer_load_i8 v5, v0, s[8:11], s3 idxen offset:8388607
// GFX13: buffer_load_i8 v5, v0, s[8:11], s3 idxen offset:8388607 ; encoding: [0x03,0x40,0x02,0xc4,0x05,0x10,0x80,0x80,0x00,0xff,0xff,0x7f]

buffer_load_i8 v5, v0, s[8:11], s3 offen offset:8388607
// GFX13: buffer_load_i8 v5, v0, s[8:11], s3 offen offset:8388607 ; encoding: [0x03,0x40,0x02,0xc4,0x05,0x10,0x80,0x40,0x00,0xff,0xff,0x7f]

buffer_load_i8 v5, off, s[8:11], s3
// GFX13: buffer_load_i8 v5, off, s[8:11], s3     ; encoding: [0x03,0x40,0x02,0xc4,0x05,0x10,0x80,0x00,0x00,0x00,0x00,0x00]

buffer_load_i8 v5, off, s[8:11], s3 offset:0
// GFX13: buffer_load_i8 v5, off, s[8:11], s3     ; encoding: [0x03,0x40,0x02,0xc4,0x05,0x10,0x80,0x00,0x00,0x00,0x00,0x00]

buffer_load_i8 v5, off, s[8:11], s3 offset:7
// GFX13: buffer_load_i8 v5, off, s[8:11], s3 offset:7 ; encoding: [0x03,0x40,0x02,0xc4,0x05,0x10,0x80,0x00,0x00,0x07,0x00,0x00]

buffer_load_i8 v5, off, s[8:11], s3 offset:8388607 th:TH_LOAD_NT_HT scope:SCOPE_DEV
// GFX13: buffer_load_i8 v5, off, s[8:11], s3 offset:8388607 th:TH_LOAD_NT_HT scope:SCOPE_DEV ; encoding: [0x03,0x40,0x02,0xc4,0x05,0x10,0xe8,0x00,0x00,0xff,0xff,0x7f]

buffer_load_i8 v5, off, s[8:11], s3 offset:8388607 th:TH_LOAD_BYPASS scope:SCOPE_SYS
// GFX13: buffer_load_i8 v5, off, s[8:11], s3 offset:8388607 th:TH_LOAD_BYPASS scope:SCOPE_SYS ; encoding: [0x03,0x40,0x02,0xc4,0x05,0x10,0xbc,0x00,0x00,0xff,0xff,0x7f]

buffer_load_i16 v5, off, s[8:11], s3 offset:8388607
// GFX13: buffer_load_i16 v5, off, s[8:11], s3 offset:8388607 ; encoding: [0x03,0xc0,0x02,0xc4,0x05,0x10,0x80,0x00,0x00,0xff,0xff,0x7f]

buffer_load_i16 v255, off, s[8:11], s3 offset:8388607
// GFX13: buffer_load_i16 v255, off, s[8:11], s3 offset:8388607 ; encoding: [0x03,0xc0,0x02,0xc4,0xff,0x10,0x80,0x00,0x00,0xff,0xff,0x7f]
	;; [unrolled: 3-line block ×6, first 2 shown]

buffer_load_i16 v5, v0, s[8:11], s3 idxen offset:8388607
// GFX13: buffer_load_i16 v5, v0, s[8:11], s3 idxen offset:8388607 ; encoding: [0x03,0xc0,0x02,0xc4,0x05,0x10,0x80,0x80,0x00,0xff,0xff,0x7f]

buffer_load_i16 v5, v0, s[8:11], s3 offen offset:8388607
// GFX13: buffer_load_i16 v5, v0, s[8:11], s3 offen offset:8388607 ; encoding: [0x03,0xc0,0x02,0xc4,0x05,0x10,0x80,0x40,0x00,0xff,0xff,0x7f]

buffer_load_i16 v5, off, s[8:11], s3
// GFX13: buffer_load_i16 v5, off, s[8:11], s3    ; encoding: [0x03,0xc0,0x02,0xc4,0x05,0x10,0x80,0x00,0x00,0x00,0x00,0x00]

buffer_load_i16 v5, off, s[8:11], s3 offset:0
// GFX13: buffer_load_i16 v5, off, s[8:11], s3    ; encoding: [0x03,0xc0,0x02,0xc4,0x05,0x10,0x80,0x00,0x00,0x00,0x00,0x00]

buffer_load_i16 v5, off, s[8:11], s3 offset:7
// GFX13: buffer_load_i16 v5, off, s[8:11], s3 offset:7 ; encoding: [0x03,0xc0,0x02,0xc4,0x05,0x10,0x80,0x00,0x00,0x07,0x00,0x00]

buffer_load_i16 v5, off, s[8:11], s3 offset:8388607 th:TH_LOAD_NT_HT scope:SCOPE_DEV
// GFX13: buffer_load_i16 v5, off, s[8:11], s3 offset:8388607 th:TH_LOAD_NT_HT scope:SCOPE_DEV ; encoding: [0x03,0xc0,0x02,0xc4,0x05,0x10,0xe8,0x00,0x00,0xff,0xff,0x7f]

buffer_load_i16 v5, off, s[8:11], s3 offset:8388607 th:TH_LOAD_BYPASS scope:SCOPE_SYS
// GFX13: buffer_load_i16 v5, off, s[8:11], s3 offset:8388607 th:TH_LOAD_BYPASS scope:SCOPE_SYS ; encoding: [0x03,0xc0,0x02,0xc4,0x05,0x10,0xbc,0x00,0x00,0xff,0xff,0x7f]

buffer_load_u8 v5, off, s[8:11], s3 offset:8388607
// GFX13: buffer_load_u8 v5, off, s[8:11], s3 offset:8388607 ; encoding: [0x03,0x00,0x02,0xc4,0x05,0x10,0x80,0x00,0x00,0xff,0xff,0x7f]

buffer_load_u8 v255, off, s[8:11], s3 offset:8388607
// GFX13: buffer_load_u8 v255, off, s[8:11], s3 offset:8388607 ; encoding: [0x03,0x00,0x02,0xc4,0xff,0x10,0x80,0x00,0x00,0xff,0xff,0x7f]
	;; [unrolled: 3-line block ×6, first 2 shown]

buffer_load_u8 v5, v0, s[8:11], s3 idxen offset:8388607
// GFX13: buffer_load_u8 v5, v0, s[8:11], s3 idxen offset:8388607 ; encoding: [0x03,0x00,0x02,0xc4,0x05,0x10,0x80,0x80,0x00,0xff,0xff,0x7f]

buffer_load_u8 v5, v0, s[8:11], s3 offen offset:8388607
// GFX13: buffer_load_u8 v5, v0, s[8:11], s3 offen offset:8388607 ; encoding: [0x03,0x00,0x02,0xc4,0x05,0x10,0x80,0x40,0x00,0xff,0xff,0x7f]

buffer_load_u8 v5, off, s[8:11], s3
// GFX13: buffer_load_u8 v5, off, s[8:11], s3     ; encoding: [0x03,0x00,0x02,0xc4,0x05,0x10,0x80,0x00,0x00,0x00,0x00,0x00]

buffer_load_u8 v5, off, s[8:11], s3 offset:0
// GFX13: buffer_load_u8 v5, off, s[8:11], s3     ; encoding: [0x03,0x00,0x02,0xc4,0x05,0x10,0x80,0x00,0x00,0x00,0x00,0x00]

buffer_load_u8 v5, off, s[8:11], s3 offset:7
// GFX13: buffer_load_u8 v5, off, s[8:11], s3 offset:7 ; encoding: [0x03,0x00,0x02,0xc4,0x05,0x10,0x80,0x00,0x00,0x07,0x00,0x00]

buffer_load_u8 v5, off, s[8:11], s3 offset:8388607 th:TH_LOAD_NT_HT scope:SCOPE_DEV
// GFX13: buffer_load_u8 v5, off, s[8:11], s3 offset:8388607 th:TH_LOAD_NT_HT scope:SCOPE_DEV ; encoding: [0x03,0x00,0x02,0xc4,0x05,0x10,0xe8,0x00,0x00,0xff,0xff,0x7f]

buffer_load_u8 v5, off, s[8:11], s3 offset:8388607 th:TH_LOAD_BYPASS scope:SCOPE_SYS
// GFX13: buffer_load_u8 v5, off, s[8:11], s3 offset:8388607 th:TH_LOAD_BYPASS scope:SCOPE_SYS ; encoding: [0x03,0x00,0x02,0xc4,0x05,0x10,0xbc,0x00,0x00,0xff,0xff,0x7f]

buffer_load_u16 v5, off, s[8:11], s3 offset:8388607
// GFX13: buffer_load_u16 v5, off, s[8:11], s3 offset:8388607 ; encoding: [0x03,0x80,0x02,0xc4,0x05,0x10,0x80,0x00,0x00,0xff,0xff,0x7f]

buffer_load_u16 v255, off, s[8:11], s3 offset:8388607
// GFX13: buffer_load_u16 v255, off, s[8:11], s3 offset:8388607 ; encoding: [0x03,0x80,0x02,0xc4,0xff,0x10,0x80,0x00,0x00,0xff,0xff,0x7f]
	;; [unrolled: 3-line block ×6, first 2 shown]

buffer_load_u16 v5, v0, s[8:11], s3 idxen offset:8388607
// GFX13: buffer_load_u16 v5, v0, s[8:11], s3 idxen offset:8388607 ; encoding: [0x03,0x80,0x02,0xc4,0x05,0x10,0x80,0x80,0x00,0xff,0xff,0x7f]

buffer_load_u16 v5, v0, s[8:11], s3 offen offset:8388607
// GFX13: buffer_load_u16 v5, v0, s[8:11], s3 offen offset:8388607 ; encoding: [0x03,0x80,0x02,0xc4,0x05,0x10,0x80,0x40,0x00,0xff,0xff,0x7f]

buffer_load_u16 v5, off, s[8:11], s3
// GFX13: buffer_load_u16 v5, off, s[8:11], s3    ; encoding: [0x03,0x80,0x02,0xc4,0x05,0x10,0x80,0x00,0x00,0x00,0x00,0x00]

buffer_load_u16 v5, off, s[8:11], s3 offset:0
// GFX13: buffer_load_u16 v5, off, s[8:11], s3    ; encoding: [0x03,0x80,0x02,0xc4,0x05,0x10,0x80,0x00,0x00,0x00,0x00,0x00]

buffer_load_u16 v5, off, s[8:11], s3 offset:7
// GFX13: buffer_load_u16 v5, off, s[8:11], s3 offset:7 ; encoding: [0x03,0x80,0x02,0xc4,0x05,0x10,0x80,0x00,0x00,0x07,0x00,0x00]

buffer_load_u16 v5, off, s[8:11], s3 offset:8388607 th:TH_LOAD_NT_HT scope:SCOPE_DEV
// GFX13: buffer_load_u16 v5, off, s[8:11], s3 offset:8388607 th:TH_LOAD_NT_HT scope:SCOPE_DEV ; encoding: [0x03,0x80,0x02,0xc4,0x05,0x10,0xe8,0x00,0x00,0xff,0xff,0x7f]

buffer_load_u16 v5, off, s[8:11], s3 offset:8388607 th:TH_LOAD_BYPASS scope:SCOPE_SYS
// GFX13: buffer_load_u16 v5, off, s[8:11], s3 offset:8388607 th:TH_LOAD_BYPASS scope:SCOPE_SYS ; encoding: [0x03,0x80,0x02,0xc4,0x05,0x10,0xbc,0x00,0x00,0xff,0xff,0x7f]

buffer_store_b8 v1, off, s[12:15], s4 offset:8388607
// GFX13: buffer_store_b8 v1, off, s[12:15], s4 offset:8388607 ; encoding: [0x04,0x00,0x06,0xc4,0x01,0x18,0x80,0x00,0x00,0xff,0xff,0x7f]

buffer_store_b8 v255, off, s[12:15], s4 offset:8388607
// GFX13: buffer_store_b8 v255, off, s[12:15], s4 offset:8388607 ; encoding: [0x04,0x00,0x06,0xc4,0xff,0x18,0x80,0x00,0x00,0xff,0xff,0x7f]
	;; [unrolled: 3-line block ×6, first 2 shown]

buffer_store_b8 v1, v0, s[12:15], s4 idxen offset:8388607
// GFX13: buffer_store_b8 v1, v0, s[12:15], s4 idxen offset:8388607 ; encoding: [0x04,0x00,0x06,0xc4,0x01,0x18,0x80,0x80,0x00,0xff,0xff,0x7f]

buffer_store_b8 v1, v0, s[12:15], s4 offen offset:8388607
// GFX13: buffer_store_b8 v1, v0, s[12:15], s4 offen offset:8388607 ; encoding: [0x04,0x00,0x06,0xc4,0x01,0x18,0x80,0x40,0x00,0xff,0xff,0x7f]

buffer_store_b8 v1, off, s[12:15], s4
// GFX13: buffer_store_b8 v1, off, s[12:15], s4   ; encoding: [0x04,0x00,0x06,0xc4,0x01,0x18,0x80,0x00,0x00,0x00,0x00,0x00]

buffer_store_b8 v1, off, s[12:15], s4 offset:0
// GFX13: buffer_store_b8 v1, off, s[12:15], s4   ; encoding: [0x04,0x00,0x06,0xc4,0x01,0x18,0x80,0x00,0x00,0x00,0x00,0x00]

buffer_store_b8 v1, off, s[12:15], s4 offset:7
// GFX13: buffer_store_b8 v1, off, s[12:15], s4 offset:7 ; encoding: [0x04,0x00,0x06,0xc4,0x01,0x18,0x80,0x00,0x00,0x07,0x00,0x00]

buffer_store_b8 v1, off, s[12:15], s4 offset:8388607 th:TH_STORE_NT_HT scope:SCOPE_DEV
// GFX13: buffer_store_b8 v1, off, s[12:15], s4 offset:8388607 th:TH_STORE_NT_HT scope:SCOPE_DEV ; encoding: [0x04,0x00,0x06,0xc4,0x01,0x18,0xe8,0x00,0x00,0xff,0xff,0x7f]

buffer_store_b16 v1, off, s[12:15], s4 offset:8388607
// GFX13: buffer_store_b16 v1, off, s[12:15], s4 offset:8388607 ; encoding: [0x04,0x80,0x06,0xc4,0x01,0x18,0x80,0x00,0x00,0xff,0xff,0x7f]

buffer_store_b16 v255, off, s[12:15], s4 offset:8388607
// GFX13: buffer_store_b16 v255, off, s[12:15], s4 offset:8388607 ; encoding: [0x04,0x80,0x06,0xc4,0xff,0x18,0x80,0x00,0x00,0xff,0xff,0x7f]
	;; [unrolled: 3-line block ×6, first 2 shown]

buffer_store_b16 v1, v0, s[12:15], s4 idxen offset:8388607
// GFX13: buffer_store_b16 v1, v0, s[12:15], s4 idxen offset:8388607 ; encoding: [0x04,0x80,0x06,0xc4,0x01,0x18,0x80,0x80,0x00,0xff,0xff,0x7f]

buffer_store_b16 v1, v0, s[12:15], s4 offen offset:8388607
// GFX13: buffer_store_b16 v1, v0, s[12:15], s4 offen offset:8388607 ; encoding: [0x04,0x80,0x06,0xc4,0x01,0x18,0x80,0x40,0x00,0xff,0xff,0x7f]

buffer_store_b16 v1, off, s[12:15], s4
// GFX13: buffer_store_b16 v1, off, s[12:15], s4  ; encoding: [0x04,0x80,0x06,0xc4,0x01,0x18,0x80,0x00,0x00,0x00,0x00,0x00]

buffer_store_b16 v1, off, s[12:15], s4 offset:0
// GFX13: buffer_store_b16 v1, off, s[12:15], s4  ; encoding: [0x04,0x80,0x06,0xc4,0x01,0x18,0x80,0x00,0x00,0x00,0x00,0x00]

buffer_store_b16 v1, off, s[12:15], s4 offset:7
// GFX13: buffer_store_b16 v1, off, s[12:15], s4 offset:7 ; encoding: [0x04,0x80,0x06,0xc4,0x01,0x18,0x80,0x00,0x00,0x07,0x00,0x00]

buffer_store_b16 v1, off, s[12:15], s4 offset:8388607 th:TH_STORE_NT_HT scope:SCOPE_DEV
// GFX13: buffer_store_b16 v1, off, s[12:15], s4 offset:8388607 th:TH_STORE_NT_HT scope:SCOPE_DEV ; encoding: [0x04,0x80,0x06,0xc4,0x01,0x18,0xe8,0x00,0x00,0xff,0xff,0x7f]

buffer_store_b16 v1, off, s[12:15], s4 offset:8388607 th:TH_STORE_BYPASS scope:SCOPE_SYS
// GFX13: buffer_store_b16 v1, off, s[12:15], s4 offset:8388607 th:TH_STORE_BYPASS scope:SCOPE_SYS ; encoding: [0x04,0x80,0x06,0xc4,0x01,0x18,0xbc,0x00,0x00,0xff,0xff,0x7f]

buffer_store_b32 v1, off, s[12:15], s4 offset:8388607
// GFX13: buffer_store_b32 v1, off, s[12:15], s4 offset:8388607 ; encoding: [0x04,0x00,0x07,0xc4,0x01,0x18,0x80,0x00,0x00,0xff,0xff,0x7f]

buffer_store_b32 v255, off, s[12:15], s4 offset:8388607
// GFX13: buffer_store_b32 v255, off, s[12:15], s4 offset:8388607 ; encoding: [0x04,0x00,0x07,0xc4,0xff,0x18,0x80,0x00,0x00,0xff,0xff,0x7f]
	;; [unrolled: 3-line block ×6, first 2 shown]

buffer_store_b32 v1, v0, s[12:15], s4 idxen offset:8388607
// GFX13: buffer_store_b32 v1, v0, s[12:15], s4 idxen offset:8388607 ; encoding: [0x04,0x00,0x07,0xc4,0x01,0x18,0x80,0x80,0x00,0xff,0xff,0x7f]

buffer_store_b32 v1, v0, s[12:15], s4 offen offset:8388607
// GFX13: buffer_store_b32 v1, v0, s[12:15], s4 offen offset:8388607 ; encoding: [0x04,0x00,0x07,0xc4,0x01,0x18,0x80,0x40,0x00,0xff,0xff,0x7f]

buffer_store_b32 v1, off, s[12:15], s4
// GFX13: buffer_store_b32 v1, off, s[12:15], s4  ; encoding: [0x04,0x00,0x07,0xc4,0x01,0x18,0x80,0x00,0x00,0x00,0x00,0x00]

buffer_store_b32 v1, off, s[12:15], s4 offset:0
// GFX13: buffer_store_b32 v1, off, s[12:15], s4  ; encoding: [0x04,0x00,0x07,0xc4,0x01,0x18,0x80,0x00,0x00,0x00,0x00,0x00]

buffer_store_b32 v1, off, s[12:15], s4 offset:7
// GFX13: buffer_store_b32 v1, off, s[12:15], s4 offset:7 ; encoding: [0x04,0x00,0x07,0xc4,0x01,0x18,0x80,0x00,0x00,0x07,0x00,0x00]

buffer_store_b32 v1, off, s[12:15], s4 offset:8388607 th:TH_STORE_NT_HT scope:SCOPE_DEV
// GFX13: buffer_store_b32 v1, off, s[12:15], s4 offset:8388607 th:TH_STORE_NT_HT scope:SCOPE_DEV ; encoding: [0x04,0x00,0x07,0xc4,0x01,0x18,0xe8,0x00,0x00,0xff,0xff,0x7f]

buffer_store_b32 v1, off, s[12:15], s4 offset:8388607 th:TH_STORE_BYPASS scope:SCOPE_SYS
// GFX13: buffer_store_b32 v1, off, s[12:15], s4 offset:8388607 th:TH_STORE_BYPASS scope:SCOPE_SYS ; encoding: [0x04,0x00,0x07,0xc4,0x01,0x18,0xbc,0x00,0x00,0xff,0xff,0x7f]

buffer_store_b64 v[1:2], off, s[12:15], s4 offset:8388607
// GFX1250-ERR: :[[@LINE-1]]:18: error: invalid operand for instruction
// GFX13: buffer_store_b64 v[1:2], off, s[12:15], s4 offset:8388607 ; encoding: [0x04,0x40,0x07,0xc4,0x01,0x18,0x80,0x00,0x00,0xff,0xff,0x7f]

buffer_store_b64 v[254:255], off, s[12:15], s4 offset:8388607
// GFX13: buffer_store_b64 v[254:255], off, s[12:15], s4 offset:8388607 ; encoding: [0x04,0x40,0x07,0xc4,0xfe,0x18,0x80,0x00,0x00,0xff,0xff,0x7f]

buffer_store_b64 v[1:2], off, s[16:19], s4 offset:8388607
// GFX1250-ERR: :[[@LINE-1]]:18: error: invalid operand for instruction
// GFX13: buffer_store_b64 v[1:2], off, s[16:19], s4 offset:8388607 ; encoding: [0x04,0x40,0x07,0xc4,0x01,0x20,0x80,0x00,0x00,0xff,0xff,0x7f]

buffer_store_b64 v[1:2], off, s[96:99], s4 offset:8388607
// GFX1250-ERR: :[[@LINE-1]]:18: error: invalid operand for instruction
	;; [unrolled: 4-line block ×4, first 2 shown]
// GFX13: buffer_store_b64 v[1:2], off, s[12:15], m0 offset:8388607 ; encoding: [0x7d,0x40,0x07,0xc4,0x01,0x18,0x80,0x00,0x00,0xff,0xff,0x7f]

buffer_store_b64 v[1:2], v0, s[12:15], s4 idxen offset:8388607
// GFX1250-ERR: :[[@LINE-1]]:18: error: invalid operand for instruction
// GFX13: buffer_store_b64 v[1:2], v0, s[12:15], s4 idxen offset:8388607 ; encoding: [0x04,0x40,0x07,0xc4,0x01,0x18,0x80,0x80,0x00,0xff,0xff,0x7f]

buffer_store_b64 v[1:2], v0, s[12:15], s4 offen offset:8388607
// GFX1250-ERR: :[[@LINE-1]]:18: error: invalid operand for instruction
// GFX13: buffer_store_b64 v[1:2], v0, s[12:15], s4 offen offset:8388607 ; encoding: [0x04,0x40,0x07,0xc4,0x01,0x18,0x80,0x40,0x00,0xff,0xff,0x7f]

buffer_store_b64 v[1:2], off, s[12:15], s4
// GFX1250-ERR: :[[@LINE-1]]:18: error: invalid operand for instruction
// GFX13: buffer_store_b64 v[1:2], off, s[12:15], s4 ; encoding: [0x04,0x40,0x07,0xc4,0x01,0x18,0x80,0x00,0x00,0x00,0x00,0x00]

buffer_store_b64 v[1:2], off, s[12:15], s4 offset:0
// GFX1250-ERR: :[[@LINE-1]]:18: error: invalid operand for instruction
// GFX13: buffer_store_b64 v[1:2], off, s[12:15], s4 ; encoding: [0x04,0x40,0x07,0xc4,0x01,0x18,0x80,0x00,0x00,0x00,0x00,0x00]

buffer_store_b64 v[1:2], off, s[12:15], s4 offset:7
// GFX1250-ERR: :[[@LINE-1]]:18: error: invalid operand for instruction
// GFX13: buffer_store_b64 v[1:2], off, s[12:15], s4 offset:7 ; encoding: [0x04,0x40,0x07,0xc4,0x01,0x18,0x80,0x00,0x00,0x07,0x00,0x00]

buffer_store_b64 v[1:2], off, s[12:15], s4 offset:8388607 th:TH_STORE_NT_HT scope:SCOPE_DEV
// GFX1250-ERR: :[[@LINE-1]]:18: error: invalid operand for instruction
// GFX13: buffer_store_b64 v[1:2], off, s[12:15], s4 offset:8388607 th:TH_STORE_NT_HT scope:SCOPE_DEV ; encoding: [0x04,0x40,0x07,0xc4,0x01,0x18,0xe8,0x00,0x00,0xff,0xff,0x7f]

buffer_store_b64 v[1:2], off, s[12:15], s4 offset:8388607 th:TH_STORE_BYPASS scope:SCOPE_SYS
// GFX1250-ERR: :[[@LINE-1]]:18: error: invalid operand for instruction
// GFX13: buffer_store_b64 v[1:2], off, s[12:15], s4 offset:8388607 th:TH_STORE_BYPASS scope:SCOPE_SYS ; encoding: [0x04,0x40,0x07,0xc4,0x01,0x18,0xbc,0x00,0x00,0xff,0xff,0x7f]

buffer_store_b96 v[1:3], off, s[12:15], s4 offset:8388607
// GFX1250-ERR: :[[@LINE-1]]:18: error: invalid operand for instruction
// GFX13: buffer_store_b96 v[1:3], off, s[12:15], s4 offset:8388607 ; encoding: [0x04,0xc0,0x07,0xc4,0x01,0x18,0x80,0x00,0x00,0xff,0xff,0x7f]

buffer_store_b96 v[253:255], off, s[12:15], s4 offset:8388607
// GFX1250-ERR: :[[@LINE-1]]:18: error: invalid operand for instruction
// GFX13: buffer_store_b96 v[253:255], off, s[12:15], s4 offset:8388607 ; encoding: [0x04,0xc0,0x07,0xc4,0xfd,0x18,0x80,0x00,0x00,0xff,0xff,0x7f]
	;; [unrolled: 4-line block ×6, first 2 shown]

buffer_store_b96 v[1:3], v0, s[12:15], s4 idxen offset:8388607
// GFX1250-ERR: :[[@LINE-1]]:18: error: invalid operand for instruction
// GFX13: buffer_store_b96 v[1:3], v0, s[12:15], s4 idxen offset:8388607 ; encoding: [0x04,0xc0,0x07,0xc4,0x01,0x18,0x80,0x80,0x00,0xff,0xff,0x7f]

buffer_store_b96 v[1:3], v0, s[12:15], s4 offen offset:8388607
// GFX1250-ERR: :[[@LINE-1]]:18: error: invalid operand for instruction
// GFX13: buffer_store_b96 v[1:3], v0, s[12:15], s4 offen offset:8388607 ; encoding: [0x04,0xc0,0x07,0xc4,0x01,0x18,0x80,0x40,0x00,0xff,0xff,0x7f]

buffer_store_b96 v[1:3], off, s[12:15], s4
// GFX1250-ERR: :[[@LINE-1]]:18: error: invalid operand for instruction
// GFX13: buffer_store_b96 v[1:3], off, s[12:15], s4 ; encoding: [0x04,0xc0,0x07,0xc4,0x01,0x18,0x80,0x00,0x00,0x00,0x00,0x00]

buffer_store_b96 v[1:3], off, s[12:15], s4 offset:0
// GFX1250-ERR: :[[@LINE-1]]:18: error: invalid operand for instruction
// GFX13: buffer_store_b96 v[1:3], off, s[12:15], s4 ; encoding: [0x04,0xc0,0x07,0xc4,0x01,0x18,0x80,0x00,0x00,0x00,0x00,0x00]

buffer_store_b96 v[1:3], off, s[12:15], s4 offset:7
// GFX1250-ERR: :[[@LINE-1]]:18: error: invalid operand for instruction
// GFX13: buffer_store_b96 v[1:3], off, s[12:15], s4 offset:7 ; encoding: [0x04,0xc0,0x07,0xc4,0x01,0x18,0x80,0x00,0x00,0x07,0x00,0x00]

buffer_store_b96 v[1:3], off, s[12:15], s4 offset:8388607 th:TH_STORE_NT_HT scope:SCOPE_DEV
// GFX1250-ERR: :[[@LINE-1]]:18: error: invalid operand for instruction
// GFX13: buffer_store_b96 v[1:3], off, s[12:15], s4 offset:8388607 th:TH_STORE_NT_HT scope:SCOPE_DEV ; encoding: [0x04,0xc0,0x07,0xc4,0x01,0x18,0xe8,0x00,0x00,0xff,0xff,0x7f]

buffer_store_b96 v[1:3], off, s[12:15], s4 offset:8388607 th:TH_STORE_BYPASS scope:SCOPE_SYS
// GFX1250-ERR: :[[@LINE-1]]:18: error: invalid operand for instruction
// GFX13: buffer_store_b96 v[1:3], off, s[12:15], s4 offset:8388607 th:TH_STORE_BYPASS scope:SCOPE_SYS ; encoding: [0x04,0xc0,0x07,0xc4,0x01,0x18,0xbc,0x00,0x00,0xff,0xff,0x7f]

buffer_store_b128 v[1:4], off, s[12:15], s4 offset:8388607
// GFX1250-ERR: :[[@LINE-1]]:19: error: invalid operand for instruction
// GFX13: buffer_store_b128 v[1:4], off, s[12:15], s4 offset:8388607 ; encoding: [0x04,0x80,0x07,0xc4,0x01,0x18,0x80,0x00,0x00,0xff,0xff,0x7f]

buffer_store_b128 v[252:255], off, s[12:15], s4 offset:8388607
// GFX13: buffer_store_b128 v[252:255], off, s[12:15], s4 offset:8388607 ; encoding: [0x04,0x80,0x07,0xc4,0xfc,0x18,0x80,0x00,0x00,0xff,0xff,0x7f]

buffer_store_b128 v[1:4], off, s[16:19], s4 offset:8388607
// GFX1250-ERR: :[[@LINE-1]]:19: error: invalid operand for instruction
// GFX13: buffer_store_b128 v[1:4], off, s[16:19], s4 offset:8388607 ; encoding: [0x04,0x80,0x07,0xc4,0x01,0x20,0x80,0x00,0x00,0xff,0xff,0x7f]

buffer_store_b128 v[1:4], off, s[96:99], s4 offset:8388607
// GFX1250-ERR: :[[@LINE-1]]:19: error: invalid operand for instruction
	;; [unrolled: 4-line block ×4, first 2 shown]
// GFX13: buffer_store_b128 v[1:4], off, s[12:15], m0 offset:8388607 ; encoding: [0x7d,0x80,0x07,0xc4,0x01,0x18,0x80,0x00,0x00,0xff,0xff,0x7f]

buffer_store_b128 v[1:4], v0, s[12:15], s4 idxen offset:8388607
// GFX1250-ERR: :[[@LINE-1]]:19: error: invalid operand for instruction
// GFX13: buffer_store_b128 v[1:4], v0, s[12:15], s4 idxen offset:8388607 ; encoding: [0x04,0x80,0x07,0xc4,0x01,0x18,0x80,0x80,0x00,0xff,0xff,0x7f]

buffer_store_b128 v[1:4], v0, s[12:15], s4 offen offset:8388607
// GFX1250-ERR: :[[@LINE-1]]:19: error: invalid operand for instruction
// GFX13: buffer_store_b128 v[1:4], v0, s[12:15], s4 offen offset:8388607 ; encoding: [0x04,0x80,0x07,0xc4,0x01,0x18,0x80,0x40,0x00,0xff,0xff,0x7f]

buffer_store_b128 v[1:4], off, s[12:15], s4
// GFX1250-ERR: :[[@LINE-1]]:19: error: invalid operand for instruction
// GFX13: buffer_store_b128 v[1:4], off, s[12:15], s4 ; encoding: [0x04,0x80,0x07,0xc4,0x01,0x18,0x80,0x00,0x00,0x00,0x00,0x00]

buffer_store_b128 v[1:4], off, s[12:15], s4 offset:0
// GFX1250-ERR: :[[@LINE-1]]:19: error: invalid operand for instruction
// GFX13: buffer_store_b128 v[1:4], off, s[12:15], s4 ; encoding: [0x04,0x80,0x07,0xc4,0x01,0x18,0x80,0x00,0x00,0x00,0x00,0x00]

buffer_store_b128 v[1:4], off, s[12:15], s4 offset:7
// GFX1250-ERR: :[[@LINE-1]]:19: error: invalid operand for instruction
// GFX13: buffer_store_b128 v[1:4], off, s[12:15], s4 offset:7 ; encoding: [0x04,0x80,0x07,0xc4,0x01,0x18,0x80,0x00,0x00,0x07,0x00,0x00]

buffer_store_b128 v[1:4], off, s[12:15], s4 offset:8388607 th:TH_STORE_NT_HT scope:SCOPE_DEV
// GFX1250-ERR: :[[@LINE-1]]:19: error: invalid operand for instruction
// GFX13: buffer_store_b128 v[1:4], off, s[12:15], s4 offset:8388607 th:TH_STORE_NT_HT scope:SCOPE_DEV ; encoding: [0x04,0x80,0x07,0xc4,0x01,0x18,0xe8,0x00,0x00,0xff,0xff,0x7f]

buffer_store_b128 v[1:4], off, s[12:15], s4 offset:8388607 th:TH_STORE_BYPASS scope:SCOPE_SYS
// GFX1250-ERR: :[[@LINE-1]]:19: error: invalid operand for instruction
// GFX13: buffer_store_b128 v[1:4], off, s[12:15], s4 offset:8388607 th:TH_STORE_BYPASS scope:SCOPE_SYS ; encoding: [0x04,0x80,0x07,0xc4,0x01,0x18,0xbc,0x00,0x00,0xff,0xff,0x7f]

buffer_store_d16_hi_b8 v1, off, s[12:15], s4 offset:8388607
// GFX13: buffer_store_d16_hi_b8 v1, off, s[12:15], s4 offset:8388607 ; encoding: [0x04,0x40,0x06,0xc4,0x01,0x18,0x80,0x00,0x00,0xff,0xff,0x7f]

buffer_store_d16_hi_b8 v255, off, s[12:15], s4 offset:8388607
// GFX13: buffer_store_d16_hi_b8 v255, off, s[12:15], s4 offset:8388607 ; encoding: [0x04,0x40,0x06,0xc4,0xff,0x18,0x80,0x00,0x00,0xff,0xff,0x7f]
	;; [unrolled: 3-line block ×6, first 2 shown]

buffer_store_d16_hi_b8 v1, v0, s[12:15], s4 idxen offset:8388607
// GFX13: buffer_store_d16_hi_b8 v1, v0, s[12:15], s4 idxen offset:8388607 ; encoding: [0x04,0x40,0x06,0xc4,0x01,0x18,0x80,0x80,0x00,0xff,0xff,0x7f]

buffer_store_d16_hi_b8 v1, v0, s[12:15], s4 offen offset:8388607
// GFX13: buffer_store_d16_hi_b8 v1, v0, s[12:15], s4 offen offset:8388607 ; encoding: [0x04,0x40,0x06,0xc4,0x01,0x18,0x80,0x40,0x00,0xff,0xff,0x7f]

buffer_store_d16_hi_b8 v1, off, s[12:15], s4
// GFX13: buffer_store_d16_hi_b8 v1, off, s[12:15], s4 ; encoding: [0x04,0x40,0x06,0xc4,0x01,0x18,0x80,0x00,0x00,0x00,0x00,0x00]

buffer_store_d16_hi_b8 v1, off, s[12:15], s4 offset:0
// GFX13: buffer_store_d16_hi_b8 v1, off, s[12:15], s4 ; encoding: [0x04,0x40,0x06,0xc4,0x01,0x18,0x80,0x00,0x00,0x00,0x00,0x00]

buffer_store_d16_hi_b8 v1, off, s[12:15], s4 offset:7
// GFX13: buffer_store_d16_hi_b8 v1, off, s[12:15], s4 offset:7 ; encoding: [0x04,0x40,0x06,0xc4,0x01,0x18,0x80,0x00,0x00,0x07,0x00,0x00]

buffer_store_d16_hi_b8 v1, off, s[12:15], s4 offset:8388607 th:TH_STORE_NT_HT scope:SCOPE_DEV
// GFX13: buffer_store_d16_hi_b8 v1, off, s[12:15], s4 offset:8388607 th:TH_STORE_NT_HT scope:SCOPE_DEV ; encoding: [0x04,0x40,0x06,0xc4,0x01,0x18,0xe8,0x00,0x00,0xff,0xff,0x7f]

buffer_store_d16_hi_b8 v1, off, s[12:15], s4 offset:8388607 th:TH_STORE_BYPASS scope:SCOPE_SYS
// GFX13: buffer_store_d16_hi_b8 v1, off, s[12:15], s4 offset:8388607 th:TH_STORE_BYPASS scope:SCOPE_SYS ; encoding: [0x04,0x40,0x06,0xc4,0x01,0x18,0xbc,0x00,0x00,0xff,0xff,0x7f]

buffer_store_d16_hi_b16 v1, off, s[12:15], s4 offset:8388607
// GFX13: buffer_store_d16_hi_b16 v1, off, s[12:15], s4 offset:8388607 ; encoding: [0x04,0xc0,0x06,0xc4,0x01,0x18,0x80,0x00,0x00,0xff,0xff,0x7f]

buffer_store_d16_hi_b16 v255, off, s[12:15], s4 offset:8388607
// GFX13: buffer_store_d16_hi_b16 v255, off, s[12:15], s4 offset:8388607 ; encoding: [0x04,0xc0,0x06,0xc4,0xff,0x18,0x80,0x00,0x00,0xff,0xff,0x7f]
	;; [unrolled: 3-line block ×6, first 2 shown]

buffer_store_d16_hi_b16 v1, v0, s[12:15], s4 idxen offset:8388607
// GFX13: buffer_store_d16_hi_b16 v1, v0, s[12:15], s4 idxen offset:8388607 ; encoding: [0x04,0xc0,0x06,0xc4,0x01,0x18,0x80,0x80,0x00,0xff,0xff,0x7f]

buffer_store_d16_hi_b16 v1, v0, s[12:15], s4 offen offset:8388607
// GFX13: buffer_store_d16_hi_b16 v1, v0, s[12:15], s4 offen offset:8388607 ; encoding: [0x04,0xc0,0x06,0xc4,0x01,0x18,0x80,0x40,0x00,0xff,0xff,0x7f]

buffer_store_d16_hi_b16 v1, off, s[12:15], s4
// GFX13: buffer_store_d16_hi_b16 v1, off, s[12:15], s4 ; encoding: [0x04,0xc0,0x06,0xc4,0x01,0x18,0x80,0x00,0x00,0x00,0x00,0x00]

buffer_store_d16_hi_b16 v1, off, s[12:15], s4 offset:0
// GFX13: buffer_store_d16_hi_b16 v1, off, s[12:15], s4 ; encoding: [0x04,0xc0,0x06,0xc4,0x01,0x18,0x80,0x00,0x00,0x00,0x00,0x00]

buffer_store_d16_hi_b16 v1, off, s[12:15], s4 offset:7
// GFX13: buffer_store_d16_hi_b16 v1, off, s[12:15], s4 offset:7 ; encoding: [0x04,0xc0,0x06,0xc4,0x01,0x18,0x80,0x00,0x00,0x07,0x00,0x00]

buffer_store_d16_hi_b16 v1, off, s[12:15], s4 offset:8388607 th:TH_STORE_NT_HT scope:SCOPE_DEV
// GFX13: buffer_store_d16_hi_b16 v1, off, s[12:15], s4 offset:8388607 th:TH_STORE_NT_HT scope:SCOPE_DEV ; encoding: [0x04,0xc0,0x06,0xc4,0x01,0x18,0xe8,0x00,0x00,0xff,0xff,0x7f]

buffer_store_d16_hi_b16 v1, off, s[12:15], s4 offset:8388607 th:TH_STORE_BYPASS scope:SCOPE_SYS
// GFX13: buffer_store_d16_hi_b16 v1, off, s[12:15], s4 offset:8388607 th:TH_STORE_BYPASS scope:SCOPE_SYS ; encoding: [0x04,0xc0,0x06,0xc4,0x01,0x18,0xbc,0x00,0x00,0xff,0xff,0x7f]

buffer_atomic_pk_add_f16 v5, off, s[8:11], s3 offset:8388607
// GFX13: buffer_atomic_pk_add_f16 v5, off, s[8:11], s3 offset:8388607 ; encoding: [0x03,0x80,0x12,0xc4,0x05,0x10,0x80,0x00,0x00,0xff,0xff,0x7f]

buffer_atomic_pk_add_f16 v255, off, s[8:11], s3 offset:8388607
// GFX13: buffer_atomic_pk_add_f16 v255, off, s[8:11], s3 offset:8388607 ; encoding: [0x03,0x80,0x12,0xc4,0xff,0x10,0x80,0x00,0x00,0xff,0xff,0x7f]
	;; [unrolled: 3-line block ×6, first 2 shown]

buffer_atomic_pk_add_f16 v5, v0, s[8:11], s3 idxen offset:8388607
// GFX13: buffer_atomic_pk_add_f16 v5, v0, s[8:11], s3 idxen offset:8388607 ; encoding: [0x03,0x80,0x12,0xc4,0x05,0x10,0x80,0x80,0x00,0xff,0xff,0x7f]

buffer_atomic_pk_add_f16 v5, v0, s[8:11], s3 offen offset:8388607
// GFX13: buffer_atomic_pk_add_f16 v5, v0, s[8:11], s3 offen offset:8388607 ; encoding: [0x03,0x80,0x12,0xc4,0x05,0x10,0x80,0x40,0x00,0xff,0xff,0x7f]

buffer_atomic_pk_add_f16 v5, off, s[8:11], s3
// GFX13: buffer_atomic_pk_add_f16 v5, off, s[8:11], s3 ; encoding: [0x03,0x80,0x12,0xc4,0x05,0x10,0x80,0x00,0x00,0x00,0x00,0x00]

buffer_atomic_pk_add_f16 v5, off, s[8:11], s3
// GFX13: buffer_atomic_pk_add_f16 v5, off, s[8:11], s3 ; encoding: [0x03,0x80,0x12,0xc4,0x05,0x10,0x80,0x00,0x00,0x00,0x00,0x00]

buffer_atomic_pk_add_f16 v5, off, s[8:11], s3 offset:7
// GFX13: buffer_atomic_pk_add_f16 v5, off, s[8:11], s3 offset:7 ; encoding: [0x03,0x80,0x12,0xc4,0x05,0x10,0x80,0x00,0x00,0x07,0x00,0x00]

buffer_atomic_pk_add_f16 v5, off, s[8:11], s3 offset:8388607 th:TH_ATOMIC_RETURN
// GFX13: buffer_atomic_pk_add_f16 v5, off, s[8:11], s3 offset:8388607 th:TH_ATOMIC_RETURN ; encoding: [0x03,0x80,0x12,0xc4,0x05,0x10,0x90,0x00,0x00,0xff,0xff,0x7f]

buffer_atomic_pk_add_f16 v5, off, s[8:11], s3 offset:8388607 th:TH_ATOMIC_RETURN scope:SCOPE_SE
// GFX13: buffer_atomic_pk_add_f16 v5, off, s[8:11], s3 offset:8388607 th:TH_ATOMIC_RETURN scope:SCOPE_SE ; encoding: [0x03,0x80,0x12,0xc4,0x05,0x10,0x94,0x00,0x00,0xff,0xff,0x7f]

buffer_atomic_pk_add_f16 v5, off, s[8:11], s3 offset:8388607 th:TH_ATOMIC_CASCADE_NT scope:SCOPE_DEV
// GFX13: buffer_atomic_pk_add_f16 v5, off, s[8:11], s3 offset:8388607 th:TH_ATOMIC_CASCADE_NT scope:SCOPE_DEV ; encoding: [0x03,0x80,0x12,0xc4,0x05,0x10,0xe8,0x00,0x00,0xff,0xff,0x7f]

buffer_atomic_pk_add_bf16 v5, off, s[8:11], s3 offset:8388607
// GFX13: buffer_atomic_pk_add_bf16 v5, off, s[8:11], s3 offset:8388607 ; encoding: [0x03,0xc0,0x12,0xc4,0x05,0x10,0x80,0x00,0x00,0xff,0xff,0x7f]

buffer_atomic_pk_add_bf16 v255, off, s[8:11], s3 offset:8388607
// GFX13: buffer_atomic_pk_add_bf16 v255, off, s[8:11], s3 offset:8388607 ; encoding: [0x03,0xc0,0x12,0xc4,0xff,0x10,0x80,0x00,0x00,0xff,0xff,0x7f]
	;; [unrolled: 3-line block ×6, first 2 shown]

buffer_atomic_pk_add_bf16 v5, v0, s[8:11], s3 idxen offset:8388607
// GFX13: buffer_atomic_pk_add_bf16 v5, v0, s[8:11], s3 idxen offset:8388607 ; encoding: [0x03,0xc0,0x12,0xc4,0x05,0x10,0x80,0x80,0x00,0xff,0xff,0x7f]

buffer_atomic_pk_add_bf16 v5, v0, s[8:11], s3 offen offset:8388607
// GFX13: buffer_atomic_pk_add_bf16 v5, v0, s[8:11], s3 offen offset:8388607 ; encoding: [0x03,0xc0,0x12,0xc4,0x05,0x10,0x80,0x40,0x00,0xff,0xff,0x7f]

buffer_atomic_pk_add_bf16 v5, off, s[8:11], s3
// GFX13: buffer_atomic_pk_add_bf16 v5, off, s[8:11], s3 ; encoding: [0x03,0xc0,0x12,0xc4,0x05,0x10,0x80,0x00,0x00,0x00,0x00,0x00]

buffer_atomic_pk_add_bf16 v5, off, s[8:11], s3
// GFX13: buffer_atomic_pk_add_bf16 v5, off, s[8:11], s3 ; encoding: [0x03,0xc0,0x12,0xc4,0x05,0x10,0x80,0x00,0x00,0x00,0x00,0x00]

buffer_atomic_pk_add_bf16 v5, off, s[8:11], s3 offset:7
// GFX13: buffer_atomic_pk_add_bf16 v5, off, s[8:11], s3 offset:7 ; encoding: [0x03,0xc0,0x12,0xc4,0x05,0x10,0x80,0x00,0x00,0x07,0x00,0x00]

buffer_atomic_pk_add_bf16 v5, off, s[8:11], s3 offset:8388607 th:TH_ATOMIC_RETURN
// GFX13: buffer_atomic_pk_add_bf16 v5, off, s[8:11], s3 offset:8388607 th:TH_ATOMIC_RETURN ; encoding: [0x03,0xc0,0x12,0xc4,0x05,0x10,0x90,0x00,0x00,0xff,0xff,0x7f]

buffer_atomic_pk_add_bf16 v5, off, s[8:11], s3 offset:8388607 th:TH_ATOMIC_RETURN scope:SCOPE_SE
// GFX13: buffer_atomic_pk_add_bf16 v5, off, s[8:11], s3 offset:8388607 th:TH_ATOMIC_RETURN scope:SCOPE_SE ; encoding: [0x03,0xc0,0x12,0xc4,0x05,0x10,0x94,0x00,0x00,0xff,0xff,0x7f]

buffer_atomic_pk_add_bf16 v5, off, s[8:11], s3 offset:8388607 th:TH_ATOMIC_CASCADE_NT scope:SCOPE_DEV
// GFX13: buffer_atomic_pk_add_bf16 v5, off, s[8:11], s3 offset:8388607 th:TH_ATOMIC_CASCADE_NT scope:SCOPE_DEV ; encoding: [0x03,0xc0,0x12,0xc4,0x05,0x10,0xe8,0x00,0x00,0xff,0xff,0x7f]

buffer_atomic_add_f32 v5, off, s[8:11], s3 offset:8388607
// GFX13: buffer_atomic_add_f32 v5, off, s[8:11], s3 offset:8388607 ; encoding: [0x03,0x00,0x15,0xc4,0x05,0x10,0x80,0x00,0x00,0xff,0xff,0x7f]

buffer_atomic_add_f32 v255, off, s[8:11], s3 offset:8388607
// GFX13: buffer_atomic_add_f32 v255, off, s[8:11], s3 offset:8388607 ; encoding: [0x03,0x00,0x15,0xc4,0xff,0x10,0x80,0x00,0x00,0xff,0xff,0x7f]
	;; [unrolled: 3-line block ×6, first 2 shown]

buffer_atomic_add_f32 v5, v0, s[8:11], s3 idxen offset:8388607
// GFX13: buffer_atomic_add_f32 v5, v0, s[8:11], s3 idxen offset:8388607 ; encoding: [0x03,0x00,0x15,0xc4,0x05,0x10,0x80,0x80,0x00,0xff,0xff,0x7f]

buffer_atomic_add_f32 v5, v0, s[8:11], s3 offen offset:8388607
// GFX13: buffer_atomic_add_f32 v5, v0, s[8:11], s3 offen offset:8388607 ; encoding: [0x03,0x00,0x15,0xc4,0x05,0x10,0x80,0x40,0x00,0xff,0xff,0x7f]

buffer_atomic_add_f32 v5, off, s[8:11], s3
// GFX13: buffer_atomic_add_f32 v5, off, s[8:11], s3 ; encoding: [0x03,0x00,0x15,0xc4,0x05,0x10,0x80,0x00,0x00,0x00,0x00,0x00]

buffer_atomic_add_f32 v5, off, s[8:11], s3 offset:0
// GFX13: buffer_atomic_add_f32 v5, off, s[8:11], s3 ; encoding: [0x03,0x00,0x15,0xc4,0x05,0x10,0x80,0x00,0x00,0x00,0x00,0x00]

buffer_atomic_add_f32 v5, off, s[8:11], s3 offset:7
// GFX13: buffer_atomic_add_f32 v5, off, s[8:11], s3 offset:7 ; encoding: [0x03,0x00,0x15,0xc4,0x05,0x10,0x80,0x00,0x00,0x07,0x00,0x00]

buffer_atomic_add_f32 v5, off, s[8:11], s3 offset:8388607 th:TH_ATOMIC_RETURN
// GFX13: buffer_atomic_add_f32 v5, off, s[8:11], s3 offset:8388607 th:TH_ATOMIC_RETURN ; encoding: [0x03,0x00,0x15,0xc4,0x05,0x10,0x90,0x00,0x00,0xff,0xff,0x7f]

buffer_atomic_add_f32 v5, off, s[8:11], s3 offset:8388607 th:TH_ATOMIC_RT_RETURN scope:SCOPE_SE
// GFX13: buffer_atomic_add_f32 v5, off, s[8:11], s3 offset:8388607 th:TH_ATOMIC_RETURN scope:SCOPE_SE ; encoding: [0x03,0x00,0x15,0xc4,0x05,0x10,0x94,0x00,0x00,0xff,0xff,0x7f]

buffer_atomic_add_u32 v5, off, s[8:11], s3 offset:8388607
// GFX13: buffer_atomic_add_u32 v5, off, s[8:11], s3 offset:8388607 ; encoding: [0x03,0x80,0x0c,0xc4,0x05,0x10,0x80,0x00,0x00,0xff,0xff,0x7f]

buffer_atomic_add_u32 v255, off, s[8:11], s3 offset:8388607
// GFX13: buffer_atomic_add_u32 v255, off, s[8:11], s3 offset:8388607 ; encoding: [0x03,0x80,0x0c,0xc4,0xff,0x10,0x80,0x00,0x00,0xff,0xff,0x7f]
	;; [unrolled: 3-line block ×6, first 2 shown]

buffer_atomic_add_u32 v5, v0, s[8:11], s3 idxen offset:8388607
// GFX13: buffer_atomic_add_u32 v5, v0, s[8:11], s3 idxen offset:8388607 ; encoding: [0x03,0x80,0x0c,0xc4,0x05,0x10,0x80,0x80,0x00,0xff,0xff,0x7f]

buffer_atomic_add_u32 v5, v0, s[8:11], s3 offen offset:8388607
// GFX13: buffer_atomic_add_u32 v5, v0, s[8:11], s3 offen offset:8388607 ; encoding: [0x03,0x80,0x0c,0xc4,0x05,0x10,0x80,0x40,0x00,0xff,0xff,0x7f]

buffer_atomic_add_u32 v5, off, s[8:11], s3
// GFX13: buffer_atomic_add_u32 v5, off, s[8:11], s3 ; encoding: [0x03,0x80,0x0c,0xc4,0x05,0x10,0x80,0x00,0x00,0x00,0x00,0x00]

buffer_atomic_add_u32 v5, off, s[8:11], s3 offset:0
// GFX13: buffer_atomic_add_u32 v5, off, s[8:11], s3 ; encoding: [0x03,0x80,0x0c,0xc4,0x05,0x10,0x80,0x00,0x00,0x00,0x00,0x00]

buffer_atomic_add_u32 v5, off, s[8:11], s3 offset:7
// GFX13: buffer_atomic_add_u32 v5, off, s[8:11], s3 offset:7 ; encoding: [0x03,0x80,0x0c,0xc4,0x05,0x10,0x80,0x00,0x00,0x07,0x00,0x00]

buffer_atomic_add_u32 v5, off, s[8:11], s3 offset:8388607 th:TH_ATOMIC_RETURN
// GFX13: buffer_atomic_add_u32 v5, off, s[8:11], s3 offset:8388607 th:TH_ATOMIC_RETURN ; encoding: [0x03,0x80,0x0c,0xc4,0x05,0x10,0x90,0x00,0x00,0xff,0xff,0x7f]

buffer_atomic_add_u32 v5, off, s[8:11], s3 offset:8388607 th:TH_ATOMIC_RT_RETURN scope:SCOPE_SE
// GFX13: buffer_atomic_add_u32 v5, off, s[8:11], s3 offset:8388607 th:TH_ATOMIC_RETURN scope:SCOPE_SE ; encoding: [0x03,0x80,0x0c,0xc4,0x05,0x10,0x94,0x00,0x00,0xff,0xff,0x7f]

buffer_atomic_add_u32 v5, off, s[8:11], s3 offset:8388607 th:TH_ATOMIC_CASCADE_NT scope:SCOPE_DEV
// GFX13: buffer_atomic_add_u32 v5, off, s[8:11], s3 offset:8388607 th:TH_ATOMIC_CASCADE_NT scope:SCOPE_DEV ; encoding: [0x03,0x80,0x0c,0xc4,0x05,0x10,0xe8,0x00,0x00,0xff,0xff,0x7f]

buffer_atomic_add_u64 v[5:6], off, s[8:11], s3 offset:8388607
// GFX1250-ERR: :[[@LINE-1]]:23: error: invalid operand for instruction
// GFX13: buffer_atomic_add_u64 v[5:6], off, s[8:11], s3 offset:8388607 ; encoding: [0x03,0x80,0x14,0xc4,0x05,0x10,0x80,0x00,0x00,0xff,0xff,0x7f]

buffer_atomic_add_u64 v[254:255], off, s[8:11], s3 offset:8388607
// GFX13: buffer_atomic_add_u64 v[254:255], off, s[8:11], s3 offset:8388607 ; encoding: [0x03,0x80,0x14,0xc4,0xfe,0x10,0x80,0x00,0x00,0xff,0xff,0x7f]

buffer_atomic_add_u64 v[5:6], off, s[12:15], s3 offset:8388607
// GFX1250-ERR: :[[@LINE-1]]:23: error: invalid operand for instruction
// GFX13: buffer_atomic_add_u64 v[5:6], off, s[12:15], s3 offset:8388607 ; encoding: [0x03,0x80,0x14,0xc4,0x05,0x18,0x80,0x00,0x00,0xff,0xff,0x7f]

buffer_atomic_add_u64 v[5:6], off, s[96:99], s3 offset:8388607
// GFX1250-ERR: :[[@LINE-1]]:23: error: invalid operand for instruction
	;; [unrolled: 4-line block ×4, first 2 shown]
// GFX13: buffer_atomic_add_u64 v[5:6], off, s[8:11], m0 offset:8388607 ; encoding: [0x7d,0x80,0x14,0xc4,0x05,0x10,0x80,0x00,0x00,0xff,0xff,0x7f]

buffer_atomic_add_u64 v[5:6], v0, s[8:11], s3 idxen offset:8388607
// GFX1250-ERR: :[[@LINE-1]]:23: error: invalid operand for instruction
// GFX13: buffer_atomic_add_u64 v[5:6], v0, s[8:11], s3 idxen offset:8388607 ; encoding: [0x03,0x80,0x14,0xc4,0x05,0x10,0x80,0x80,0x00,0xff,0xff,0x7f]

buffer_atomic_add_u64 v[5:6], v0, s[8:11], s3 offen offset:8388607
// GFX1250-ERR: :[[@LINE-1]]:23: error: invalid operand for instruction
// GFX13: buffer_atomic_add_u64 v[5:6], v0, s[8:11], s3 offen offset:8388607 ; encoding: [0x03,0x80,0x14,0xc4,0x05,0x10,0x80,0x40,0x00,0xff,0xff,0x7f]

buffer_atomic_add_u64 v[5:6], off, s[8:11], s3
// GFX1250-ERR: :[[@LINE-1]]:23: error: invalid operand for instruction
// GFX13: buffer_atomic_add_u64 v[5:6], off, s[8:11], s3 ; encoding: [0x03,0x80,0x14,0xc4,0x05,0x10,0x80,0x00,0x00,0x00,0x00,0x00]

buffer_atomic_add_u64 v[5:6], off, s[8:11], s3 offset:0
// GFX1250-ERR: :[[@LINE-1]]:23: error: invalid operand for instruction
// GFX13: buffer_atomic_add_u64 v[5:6], off, s[8:11], s3 ; encoding: [0x03,0x80,0x14,0xc4,0x05,0x10,0x80,0x00,0x00,0x00,0x00,0x00]

buffer_atomic_add_u64 v[5:6], off, s[8:11], s3 offset:7
// GFX1250-ERR: :[[@LINE-1]]:23: error: invalid operand for instruction
// GFX13: buffer_atomic_add_u64 v[5:6], off, s[8:11], s3 offset:7 ; encoding: [0x03,0x80,0x14,0xc4,0x05,0x10,0x80,0x00,0x00,0x07,0x00,0x00]

buffer_atomic_add_u64 v[5:6], off, s[8:11], s3 offset:8388607 th:TH_ATOMIC_RETURN
// GFX1250-ERR: :[[@LINE-1]]:23: error: invalid operand for instruction
// GFX13: buffer_atomic_add_u64 v[5:6], off, s[8:11], s3 offset:8388607 th:TH_ATOMIC_RETURN ; encoding: [0x03,0x80,0x14,0xc4,0x05,0x10,0x90,0x00,0x00,0xff,0xff,0x7f]

buffer_atomic_add_u64 v[5:6], off, s[8:11], s3 offset:8388607 th:TH_ATOMIC_RT_RETURN scope:SCOPE_SE
// GFX1250-ERR: :[[@LINE-1]]:23: error: invalid operand for instruction
// GFX13: buffer_atomic_add_u64 v[5:6], off, s[8:11], s3 offset:8388607 th:TH_ATOMIC_RETURN scope:SCOPE_SE ; encoding: [0x03,0x80,0x14,0xc4,0x05,0x10,0x94,0x00,0x00,0xff,0xff,0x7f]

buffer_atomic_add_u64 v[5:6], off, s[8:11], s3 offset:8388607 th:TH_ATOMIC_CASCADE_NT scope:SCOPE_DEV
// GFX1250-ERR: :[[@LINE-1]]:23: error: invalid operand for instruction
// GFX13: buffer_atomic_add_u64 v[5:6], off, s[8:11], s3 offset:8388607 th:TH_ATOMIC_CASCADE_NT scope:SCOPE_DEV ; encoding: [0x03,0x80,0x14,0xc4,0x05,0x10,0xe8,0x00,0x00,0xff,0xff,0x7f]

buffer_atomic_and_b32 v5, off, s[8:11], s3 offset:8388607
// GFX13: buffer_atomic_and_b32 v5, off, s[8:11], s3 offset:8388607 ; encoding: [0x03,0x40,0x0e,0xc4,0x05,0x10,0x80,0x00,0x00,0xff,0xff,0x7f]

buffer_atomic_and_b32 v255, off, s[8:11], s3 offset:8388607
// GFX13: buffer_atomic_and_b32 v255, off, s[8:11], s3 offset:8388607 ; encoding: [0x03,0x40,0x0e,0xc4,0xff,0x10,0x80,0x00,0x00,0xff,0xff,0x7f]
	;; [unrolled: 3-line block ×6, first 2 shown]

buffer_atomic_and_b32 v5, v0, s[8:11], s3 idxen offset:8388607
// GFX13: buffer_atomic_and_b32 v5, v0, s[8:11], s3 idxen offset:8388607 ; encoding: [0x03,0x40,0x0e,0xc4,0x05,0x10,0x80,0x80,0x00,0xff,0xff,0x7f]

buffer_atomic_and_b32 v5, v0, s[8:11], s3 offen offset:8388607
// GFX13: buffer_atomic_and_b32 v5, v0, s[8:11], s3 offen offset:8388607 ; encoding: [0x03,0x40,0x0e,0xc4,0x05,0x10,0x80,0x40,0x00,0xff,0xff,0x7f]

buffer_atomic_and_b32 v5, off, s[8:11], s3
// GFX13: buffer_atomic_and_b32 v5, off, s[8:11], s3 ; encoding: [0x03,0x40,0x0e,0xc4,0x05,0x10,0x80,0x00,0x00,0x00,0x00,0x00]

buffer_atomic_and_b32 v5, off, s[8:11], s3 offset:0
// GFX13: buffer_atomic_and_b32 v5, off, s[8:11], s3 ; encoding: [0x03,0x40,0x0e,0xc4,0x05,0x10,0x80,0x00,0x00,0x00,0x00,0x00]

buffer_atomic_and_b32 v5, off, s[8:11], s3 offset:7
// GFX13: buffer_atomic_and_b32 v5, off, s[8:11], s3 offset:7 ; encoding: [0x03,0x40,0x0e,0xc4,0x05,0x10,0x80,0x00,0x00,0x07,0x00,0x00]

buffer_atomic_and_b32 v5, off, s[8:11], s3 offset:8388607 th:TH_ATOMIC_RETURN
// GFX13: buffer_atomic_and_b32 v5, off, s[8:11], s3 offset:8388607 th:TH_ATOMIC_RETURN ; encoding: [0x03,0x40,0x0e,0xc4,0x05,0x10,0x90,0x00,0x00,0xff,0xff,0x7f]

buffer_atomic_and_b32 v5, off, s[8:11], s3 offset:8388607 th:TH_ATOMIC_RT_RETURN scope:SCOPE_SE
// GFX13: buffer_atomic_and_b32 v5, off, s[8:11], s3 offset:8388607 th:TH_ATOMIC_RETURN scope:SCOPE_SE ; encoding: [0x03,0x40,0x0e,0xc4,0x05,0x10,0x94,0x00,0x00,0xff,0xff,0x7f]

buffer_atomic_and_b32 v5, off, s[8:11], s3 offset:8388607 th:TH_ATOMIC_CASCADE_NT scope:SCOPE_DEV
// GFX13: buffer_atomic_and_b32 v5, off, s[8:11], s3 offset:8388607 th:TH_ATOMIC_CASCADE_NT scope:SCOPE_DEV ; encoding: [0x03,0x40,0x0e,0xc4,0x05,0x10,0xe8,0x00,0x00,0xff,0xff,0x7f]

buffer_atomic_and_b64 v[5:6], off, s[8:11], s3 offset:8388607
// GFX1250-ERR: :[[@LINE-1]]:23: error: invalid operand for instruction
// GFX13: buffer_atomic_and_b64 v[5:6], off, s[8:11], s3 offset:8388607 ; encoding: [0x03,0x40,0x16,0xc4,0x05,0x10,0x80,0x00,0x00,0xff,0xff,0x7f]

buffer_atomic_and_b64 v[254:255], off, s[8:11], s3 offset:8388607
// GFX13: buffer_atomic_and_b64 v[254:255], off, s[8:11], s3 offset:8388607 ; encoding: [0x03,0x40,0x16,0xc4,0xfe,0x10,0x80,0x00,0x00,0xff,0xff,0x7f]

buffer_atomic_and_b64 v[5:6], off, s[12:15], s3 offset:8388607
// GFX1250-ERR: :[[@LINE-1]]:23: error: invalid operand for instruction
// GFX13: buffer_atomic_and_b64 v[5:6], off, s[12:15], s3 offset:8388607 ; encoding: [0x03,0x40,0x16,0xc4,0x05,0x18,0x80,0x00,0x00,0xff,0xff,0x7f]

buffer_atomic_and_b64 v[5:6], off, s[96:99], s3 offset:8388607
// GFX1250-ERR: :[[@LINE-1]]:23: error: invalid operand for instruction
	;; [unrolled: 4-line block ×4, first 2 shown]
// GFX13: buffer_atomic_and_b64 v[5:6], off, s[8:11], m0 offset:8388607 ; encoding: [0x7d,0x40,0x16,0xc4,0x05,0x10,0x80,0x00,0x00,0xff,0xff,0x7f]

buffer_atomic_and_b64 v[5:6], v0, s[8:11], s3 idxen offset:8388607
// GFX1250-ERR: :[[@LINE-1]]:23: error: invalid operand for instruction
// GFX13: buffer_atomic_and_b64 v[5:6], v0, s[8:11], s3 idxen offset:8388607 ; encoding: [0x03,0x40,0x16,0xc4,0x05,0x10,0x80,0x80,0x00,0xff,0xff,0x7f]

buffer_atomic_and_b64 v[5:6], v0, s[8:11], s3 offen offset:8388607
// GFX1250-ERR: :[[@LINE-1]]:23: error: invalid operand for instruction
// GFX13: buffer_atomic_and_b64 v[5:6], v0, s[8:11], s3 offen offset:8388607 ; encoding: [0x03,0x40,0x16,0xc4,0x05,0x10,0x80,0x40,0x00,0xff,0xff,0x7f]

buffer_atomic_and_b64 v[5:6], off, s[8:11], s3
// GFX1250-ERR: :[[@LINE-1]]:23: error: invalid operand for instruction
// GFX13: buffer_atomic_and_b64 v[5:6], off, s[8:11], s3 ; encoding: [0x03,0x40,0x16,0xc4,0x05,0x10,0x80,0x00,0x00,0x00,0x00,0x00]

buffer_atomic_and_b64 v[5:6], off, s[8:11], s3 offset:0
// GFX1250-ERR: :[[@LINE-1]]:23: error: invalid operand for instruction
// GFX13: buffer_atomic_and_b64 v[5:6], off, s[8:11], s3 ; encoding: [0x03,0x40,0x16,0xc4,0x05,0x10,0x80,0x00,0x00,0x00,0x00,0x00]

buffer_atomic_and_b64 v[5:6], off, s[8:11], s3 offset:7
// GFX1250-ERR: :[[@LINE-1]]:23: error: invalid operand for instruction
// GFX13: buffer_atomic_and_b64 v[5:6], off, s[8:11], s3 offset:7 ; encoding: [0x03,0x40,0x16,0xc4,0x05,0x10,0x80,0x00,0x00,0x07,0x00,0x00]

buffer_atomic_and_b64 v[5:6], off, s[8:11], s3 offset:8388607 th:TH_ATOMIC_RETURN
// GFX1250-ERR: :[[@LINE-1]]:23: error: invalid operand for instruction
// GFX13: buffer_atomic_and_b64 v[5:6], off, s[8:11], s3 offset:8388607 th:TH_ATOMIC_RETURN ; encoding: [0x03,0x40,0x16,0xc4,0x05,0x10,0x90,0x00,0x00,0xff,0xff,0x7f]

buffer_atomic_and_b64 v[5:6], off, s[8:11], s3 offset:8388607 th:TH_ATOMIC_RT_RETURN scope:SCOPE_SE
// GFX1250-ERR: :[[@LINE-1]]:23: error: invalid operand for instruction
// GFX13: buffer_atomic_and_b64 v[5:6], off, s[8:11], s3 offset:8388607 th:TH_ATOMIC_RETURN scope:SCOPE_SE ; encoding: [0x03,0x40,0x16,0xc4,0x05,0x10,0x94,0x00,0x00,0xff,0xff,0x7f]

buffer_atomic_and_b64 v[5:6], off, s[8:11], s3 offset:8388607 th:TH_ATOMIC_CASCADE_NT scope:SCOPE_DEV
// GFX1250-ERR: :[[@LINE-1]]:23: error: invalid operand for instruction
// GFX13: buffer_atomic_and_b64 v[5:6], off, s[8:11], s3 offset:8388607 th:TH_ATOMIC_CASCADE_NT scope:SCOPE_DEV ; encoding: [0x03,0x40,0x16,0xc4,0x05,0x10,0xe8,0x00,0x00,0xff,0xff,0x7f]

buffer_atomic_cmpswap_b32 v[5:6], off, s[8:11], s3 offset:8388607
// GFX1250-ERR: :[[@LINE-1]]:27: error: invalid operand for instruction
// GFX13: buffer_atomic_cmpswap_b32 v[5:6], off, s[8:11], s3 offset:8388607 ; encoding: [0x03,0x40,0x0c,0xc4,0x05,0x10,0x80,0x00,0x00,0xff,0xff,0x7f]

buffer_atomic_cmpswap_b32 v[254:255], off, s[8:11], s3 offset:8388607
// GFX13: buffer_atomic_cmpswap_b32 v[254:255], off, s[8:11], s3 offset:8388607 ; encoding: [0x03,0x40,0x0c,0xc4,0xfe,0x10,0x80,0x00,0x00,0xff,0xff,0x7f]

buffer_atomic_cmpswap_b32 v[5:6], off, s[12:15], s3 offset:8388607
// GFX1250-ERR: :[[@LINE-1]]:27: error: invalid operand for instruction
// GFX13: buffer_atomic_cmpswap_b32 v[5:6], off, s[12:15], s3 offset:8388607 ; encoding: [0x03,0x40,0x0c,0xc4,0x05,0x18,0x80,0x00,0x00,0xff,0xff,0x7f]

buffer_atomic_cmpswap_b32 v[5:6], off, s[96:99], s3 offset:8388607
// GFX1250-ERR: :[[@LINE-1]]:27: error: invalid operand for instruction
	;; [unrolled: 4-line block ×4, first 2 shown]
// GFX13: buffer_atomic_cmpswap_b32 v[5:6], off, s[8:11], m0 offset:8388607 ; encoding: [0x7d,0x40,0x0c,0xc4,0x05,0x10,0x80,0x00,0x00,0xff,0xff,0x7f]

buffer_atomic_cmpswap_b32 v[5:6], v0, s[8:11], s3 idxen offset:8388607
// GFX1250-ERR: :[[@LINE-1]]:27: error: invalid operand for instruction
// GFX13: buffer_atomic_cmpswap_b32 v[5:6], v0, s[8:11], s3 idxen offset:8388607 ; encoding: [0x03,0x40,0x0c,0xc4,0x05,0x10,0x80,0x80,0x00,0xff,0xff,0x7f]

buffer_atomic_cmpswap_b32 v[5:6], v0, s[8:11], s3 offen offset:8388607
// GFX1250-ERR: :[[@LINE-1]]:27: error: invalid operand for instruction
// GFX13: buffer_atomic_cmpswap_b32 v[5:6], v0, s[8:11], s3 offen offset:8388607 ; encoding: [0x03,0x40,0x0c,0xc4,0x05,0x10,0x80,0x40,0x00,0xff,0xff,0x7f]

buffer_atomic_cmpswap_b32 v[5:6], off, s[8:11], s3
// GFX1250-ERR: :[[@LINE-1]]:27: error: invalid operand for instruction
// GFX13: buffer_atomic_cmpswap_b32 v[5:6], off, s[8:11], s3 ; encoding: [0x03,0x40,0x0c,0xc4,0x05,0x10,0x80,0x00,0x00,0x00,0x00,0x00]

buffer_atomic_cmpswap_b32 v[5:6], off, s[8:11], s3 offset:0
// GFX1250-ERR: :[[@LINE-1]]:27: error: invalid operand for instruction
// GFX13: buffer_atomic_cmpswap_b32 v[5:6], off, s[8:11], s3 ; encoding: [0x03,0x40,0x0c,0xc4,0x05,0x10,0x80,0x00,0x00,0x00,0x00,0x00]

buffer_atomic_cmpswap_b32 v[5:6], off, s[8:11], s3 offset:7
// GFX1250-ERR: :[[@LINE-1]]:27: error: invalid operand for instruction
// GFX13: buffer_atomic_cmpswap_b32 v[5:6], off, s[8:11], s3 offset:7 ; encoding: [0x03,0x40,0x0c,0xc4,0x05,0x10,0x80,0x00,0x00,0x07,0x00,0x00]

buffer_atomic_cmpswap_b32 v[5:6], off, s[8:11], s3 offset:8388607 th:TH_ATOMIC_RETURN
// GFX1250-ERR: :[[@LINE-1]]:27: error: invalid operand for instruction
// GFX13: buffer_atomic_cmpswap_b32 v[5:6], off, s[8:11], s3 offset:8388607 th:TH_ATOMIC_RETURN ; encoding: [0x03,0x40,0x0c,0xc4,0x05,0x10,0x90,0x00,0x00,0xff,0xff,0x7f]

buffer_atomic_cmpswap_b32 v[5:6], off, s[8:11], s3 offset:8388607 th:TH_ATOMIC_RT_RETURN scope:SCOPE_SE
// GFX1250-ERR: :[[@LINE-1]]:27: error: invalid operand for instruction
// GFX13: buffer_atomic_cmpswap_b32 v[5:6], off, s[8:11], s3 offset:8388607 th:TH_ATOMIC_RETURN scope:SCOPE_SE ; encoding: [0x03,0x40,0x0c,0xc4,0x05,0x10,0x94,0x00,0x00,0xff,0xff,0x7f]

buffer_atomic_cmpswap_b32 v[5:6], off, s[8:11], s3 offset:8388607 th:TH_ATOMIC_CASCADE_NT scope:SCOPE_DEV
// GFX1250-ERR: :[[@LINE-1]]:27: error: invalid operand for instruction
// GFX13: buffer_atomic_cmpswap_b32 v[5:6], off, s[8:11], s3 offset:8388607 th:TH_ATOMIC_CASCADE_NT scope:SCOPE_DEV ; encoding: [0x03,0x40,0x0c,0xc4,0x05,0x10,0xe8,0x00,0x00,0xff,0xff,0x7f]

buffer_atomic_cmpswap_b64 v[5:8], off, s[8:11], s3 offset:8388607
// GFX1250-ERR: :[[@LINE-1]]:27: error: invalid operand for instruction
// GFX13: buffer_atomic_cmpswap_b64 v[5:8], off, s[8:11], s3 offset:8388607 ; encoding: [0x03,0x40,0x14,0xc4,0x05,0x10,0x80,0x00,0x00,0xff,0xff,0x7f]

buffer_atomic_cmpswap_b64 v[252:255], off, s[8:11], s3 offset:8388607
// GFX13: buffer_atomic_cmpswap_b64 v[252:255], off, s[8:11], s3 offset:8388607 ; encoding: [0x03,0x40,0x14,0xc4,0xfc,0x10,0x80,0x00,0x00,0xff,0xff,0x7f]

buffer_atomic_cmpswap_b64 v[5:8], off, s[12:15], s3 offset:8388607
// GFX1250-ERR: :[[@LINE-1]]:27: error: invalid operand for instruction
// GFX13: buffer_atomic_cmpswap_b64 v[5:8], off, s[12:15], s3 offset:8388607 ; encoding: [0x03,0x40,0x14,0xc4,0x05,0x18,0x80,0x00,0x00,0xff,0xff,0x7f]

buffer_atomic_cmpswap_b64 v[5:8], off, s[96:99], s3 offset:8388607
// GFX1250-ERR: :[[@LINE-1]]:27: error: invalid operand for instruction
	;; [unrolled: 4-line block ×4, first 2 shown]
// GFX13: buffer_atomic_cmpswap_b64 v[5:8], off, s[8:11], m0 offset:8388607 ; encoding: [0x7d,0x40,0x14,0xc4,0x05,0x10,0x80,0x00,0x00,0xff,0xff,0x7f]

buffer_atomic_cmpswap_b64 v[5:8], v0, s[8:11], s3 idxen offset:8388607
// GFX1250-ERR: :[[@LINE-1]]:27: error: invalid operand for instruction
// GFX13: buffer_atomic_cmpswap_b64 v[5:8], v0, s[8:11], s3 idxen offset:8388607 ; encoding: [0x03,0x40,0x14,0xc4,0x05,0x10,0x80,0x80,0x00,0xff,0xff,0x7f]

buffer_atomic_cmpswap_b64 v[5:8], v0, s[8:11], s3 offen offset:8388607
// GFX1250-ERR: :[[@LINE-1]]:27: error: invalid operand for instruction
// GFX13: buffer_atomic_cmpswap_b64 v[5:8], v0, s[8:11], s3 offen offset:8388607 ; encoding: [0x03,0x40,0x14,0xc4,0x05,0x10,0x80,0x40,0x00,0xff,0xff,0x7f]

buffer_atomic_cmpswap_b64 v[5:8], off, s[8:11], s3
// GFX1250-ERR: :[[@LINE-1]]:27: error: invalid operand for instruction
// GFX13: buffer_atomic_cmpswap_b64 v[5:8], off, s[8:11], s3 ; encoding: [0x03,0x40,0x14,0xc4,0x05,0x10,0x80,0x00,0x00,0x00,0x00,0x00]

buffer_atomic_cmpswap_b64 v[5:8], off, s[8:11], s3 offset:0
// GFX1250-ERR: :[[@LINE-1]]:27: error: invalid operand for instruction
// GFX13: buffer_atomic_cmpswap_b64 v[5:8], off, s[8:11], s3 ; encoding: [0x03,0x40,0x14,0xc4,0x05,0x10,0x80,0x00,0x00,0x00,0x00,0x00]

buffer_atomic_cmpswap_b64 v[5:8], off, s[8:11], s3 offset:7
// GFX1250-ERR: :[[@LINE-1]]:27: error: invalid operand for instruction
// GFX13: buffer_atomic_cmpswap_b64 v[5:8], off, s[8:11], s3 offset:7 ; encoding: [0x03,0x40,0x14,0xc4,0x05,0x10,0x80,0x00,0x00,0x07,0x00,0x00]

buffer_atomic_cmpswap_b64 v[5:8], off, s[8:11], s3 offset:8388607 th:TH_ATOMIC_RETURN
// GFX1250-ERR: :[[@LINE-1]]:27: error: invalid operand for instruction
// GFX13: buffer_atomic_cmpswap_b64 v[5:8], off, s[8:11], s3 offset:8388607 th:TH_ATOMIC_RETURN ; encoding: [0x03,0x40,0x14,0xc4,0x05,0x10,0x90,0x00,0x00,0xff,0xff,0x7f]

buffer_atomic_cmpswap_b64 v[5:8], off, s[8:11], s3 offset:8388607 th:TH_ATOMIC_RT_RETURN scope:SCOPE_SE
// GFX1250-ERR: :[[@LINE-1]]:27: error: invalid operand for instruction
// GFX13: buffer_atomic_cmpswap_b64 v[5:8], off, s[8:11], s3 offset:8388607 th:TH_ATOMIC_RETURN scope:SCOPE_SE ; encoding: [0x03,0x40,0x14,0xc4,0x05,0x10,0x94,0x00,0x00,0xff,0xff,0x7f]

buffer_atomic_cmpswap_b64 v[5:8], off, s[8:11], s3 offset:8388607 th:TH_ATOMIC_CASCADE_NT scope:SCOPE_DEV
// GFX1250-ERR: :[[@LINE-1]]:27: error: invalid operand for instruction
// GFX13: buffer_atomic_cmpswap_b64 v[5:8], off, s[8:11], s3 offset:8388607 th:TH_ATOMIC_CASCADE_NT scope:SCOPE_DEV ; encoding: [0x03,0x40,0x14,0xc4,0x05,0x10,0xe8,0x00,0x00,0xff,0xff,0x7f]

buffer_atomic_sub_clamp_u32 v5, off, s[8:11], s3 offset:8388607
// GFX13: buffer_atomic_sub_clamp_u32 v5, off, s[8:11], s3 offset:8388607 ; encoding: [0x03,0x00,0x0d,0xc4,0x05,0x10,0x80,0x00,0x00,0xff,0xff,0x7f]

buffer_atomic_sub_clamp_u32 v255, off, s[8:11], s3 offset:8388607 th:TH_ATOMIC_RETURN
// GFX13: buffer_atomic_sub_clamp_u32 v255, off, s[8:11], s3 offset:8388607 th:TH_ATOMIC_RETURN ; encoding: [0x03,0x00,0x0d,0xc4,0xff,0x10,0x90,0x00,0x00,0xff,0xff,0x7f]

buffer_atomic_sub_clamp_u32 v255, off, s[8:11], s3 offset:8388607 th:TH_ATOMIC_RT_RETURN scope:SCOPE_SE
// GFX13: buffer_atomic_sub_clamp_u32 v255, off, s[8:11], s3 offset:8388607 th:TH_ATOMIC_RETURN scope:SCOPE_SE ; encoding: [0x03,0x00,0x0d,0xc4,0xff,0x10,0x94,0x00,0x00,0xff,0xff,0x7f]

buffer_atomic_sub_clamp_u32 v255, off, s[8:11], s3 offset:8388607 th:TH_ATOMIC_CASCADE_NT scope:SCOPE_DEV
// GFX13: buffer_atomic_sub_clamp_u32 v255, off, s[8:11], s3 offset:8388607 th:TH_ATOMIC_CASCADE_NT scope:SCOPE_DEV ; encoding: [0x03,0x00,0x0d,0xc4,0xff,0x10,0xe8,0x00,0x00,0xff,0xff,0x7f]

buffer_atomic_sub_clamp_u32 v5, off, s[12:15], s3 offset:8388607 th:TH_ATOMIC_RETURN
// GFX13: buffer_atomic_sub_clamp_u32 v5, off, s[12:15], s3 offset:8388607 th:TH_ATOMIC_RETURN ; encoding: [0x03,0x00,0x0d,0xc4,0x05,0x18,0x90,0x00,0x00,0xff,0xff,0x7f]

buffer_atomic_sub_clamp_u32 v5, off, s[12:15], s3 offset:8388607 th:TH_ATOMIC_RT_RETURN scope:SCOPE_SE
// GFX13: buffer_atomic_sub_clamp_u32 v5, off, s[12:15], s3 offset:8388607 th:TH_ATOMIC_RETURN scope:SCOPE_SE ; encoding: [0x03,0x00,0x0d,0xc4,0x05,0x18,0x94,0x00,0x00,0xff,0xff,0x7f]

buffer_atomic_sub_clamp_u32 v5, off, s[12:15], s3 offset:8388607 th:TH_ATOMIC_CASCADE_NT scope:SCOPE_DEV
// GFX13: buffer_atomic_sub_clamp_u32 v5, off, s[12:15], s3 offset:8388607 th:TH_ATOMIC_CASCADE_NT scope:SCOPE_DEV ; encoding: [0x03,0x00,0x0d,0xc4,0x05,0x18,0xe8,0x00,0x00,0xff,0xff,0x7f]
	;; [unrolled: 9-line block ×5, first 2 shown]

buffer_atomic_sub_clamp_u32 v5, v0, s[8:11], s3 idxen offset:8388607 th:TH_ATOMIC_RETURN
// GFX13: buffer_atomic_sub_clamp_u32 v5, v0, s[8:11], s3 idxen offset:8388607 th:TH_ATOMIC_RETURN ; encoding: [0x03,0x00,0x0d,0xc4,0x05,0x10,0x90,0x80,0x00,0xff,0xff,0x7f]

buffer_atomic_sub_clamp_u32 v5, v0, s[8:11], s3 idxen offset:8388607 th:TH_ATOMIC_RT_RETURN scope:SCOPE_SE
// GFX13: buffer_atomic_sub_clamp_u32 v5, v0, s[8:11], s3 idxen offset:8388607 th:TH_ATOMIC_RETURN scope:SCOPE_SE ; encoding: [0x03,0x00,0x0d,0xc4,0x05,0x10,0x94,0x80,0x00,0xff,0xff,0x7f]

buffer_atomic_sub_clamp_u32 v5, v0, s[8:11], s3 idxen offset:8388607 th:TH_ATOMIC_CASCADE_NT scope:SCOPE_DEV
// GFX13: buffer_atomic_sub_clamp_u32 v5, v0, s[8:11], s3 idxen offset:8388607 th:TH_ATOMIC_CASCADE_NT scope:SCOPE_DEV ; encoding: [0x03,0x00,0x0d,0xc4,0x05,0x10,0xe8,0x80,0x00,0xff,0xff,0x7f]

buffer_atomic_sub_clamp_u32 v5, v0, s[8:11], s3 offen offset:8388607 th:TH_ATOMIC_RETURN
// GFX13: buffer_atomic_sub_clamp_u32 v5, v0, s[8:11], s3 offen offset:8388607 th:TH_ATOMIC_RETURN ; encoding: [0x03,0x00,0x0d,0xc4,0x05,0x10,0x90,0x40,0x00,0xff,0xff,0x7f]

buffer_atomic_sub_clamp_u32 v5, v0, s[8:11], s3 offen offset:8388607 th:TH_ATOMIC_RT_RETURN scope:SCOPE_SE
// GFX13: buffer_atomic_sub_clamp_u32 v5, v0, s[8:11], s3 offen offset:8388607 th:TH_ATOMIC_RETURN scope:SCOPE_SE ; encoding: [0x03,0x00,0x0d,0xc4,0x05,0x10,0x94,0x40,0x00,0xff,0xff,0x7f]

buffer_atomic_sub_clamp_u32 v5, v0, s[8:11], s3 offen offset:8388607 th:TH_ATOMIC_CASCADE_NT scope:SCOPE_DEV
// GFX13: buffer_atomic_sub_clamp_u32 v5, v0, s[8:11], s3 offen offset:8388607 th:TH_ATOMIC_CASCADE_NT scope:SCOPE_DEV ; encoding: [0x03,0x00,0x0d,0xc4,0x05,0x10,0xe8,0x40,0x00,0xff,0xff,0x7f]

buffer_atomic_sub_clamp_u32 v5, off, s[8:11], s3 th:TH_ATOMIC_RETURN
// GFX13: buffer_atomic_sub_clamp_u32 v5, off, s[8:11], s3 th:TH_ATOMIC_RETURN ; encoding: [0x03,0x00,0x0d,0xc4,0x05,0x10,0x90,0x00,0x00,0x00,0x00,0x00]

buffer_atomic_sub_clamp_u32 v5, off, s[8:11], s3 th:TH_ATOMIC_RT_RETURN scope:SCOPE_SE
// GFX13: buffer_atomic_sub_clamp_u32 v5, off, s[8:11], s3 th:TH_ATOMIC_RETURN scope:SCOPE_SE ; encoding: [0x03,0x00,0x0d,0xc4,0x05,0x10,0x94,0x00,0x00,0x00,0x00,0x00]

buffer_atomic_sub_clamp_u32 v5, off, s[8:11], s3 th:TH_ATOMIC_CASCADE_NT scope:SCOPE_DEV
// GFX13: buffer_atomic_sub_clamp_u32 v5, off, s[8:11], s3 th:TH_ATOMIC_CASCADE_NT scope:SCOPE_DEV ; encoding: [0x03,0x00,0x0d,0xc4,0x05,0x10,0xe8,0x00,0x00,0x00,0x00,0x00]

buffer_atomic_sub_clamp_u32 v5, off, s[8:11], s3 offset:0 th:TH_ATOMIC_RETURN
// GFX13: buffer_atomic_sub_clamp_u32 v5, off, s[8:11], s3 th:TH_ATOMIC_RETURN ; encoding: [0x03,0x00,0x0d,0xc4,0x05,0x10,0x90,0x00,0x00,0x00,0x00,0x00]

buffer_atomic_sub_clamp_u32 v5, off, s[8:11], s3 offset:0 th:TH_ATOMIC_RT_RETURN scope:SCOPE_SE
// GFX13: buffer_atomic_sub_clamp_u32 v5, off, s[8:11], s3 th:TH_ATOMIC_RETURN scope:SCOPE_SE ; encoding: [0x03,0x00,0x0d,0xc4,0x05,0x10,0x94,0x00,0x00,0x00,0x00,0x00]

buffer_atomic_sub_clamp_u32 v5, off, s[8:11], s3 offset:0 th:TH_ATOMIC_CASCADE_NT scope:SCOPE_DEV
// GFX13: buffer_atomic_sub_clamp_u32 v5, off, s[8:11], s3 th:TH_ATOMIC_CASCADE_NT scope:SCOPE_DEV ; encoding: [0x03,0x00,0x0d,0xc4,0x05,0x10,0xe8,0x00,0x00,0x00,0x00,0x00]

buffer_atomic_sub_clamp_u32 v5, off, s[8:11], s3 offset:7 th:TH_ATOMIC_RETURN
// GFX13: buffer_atomic_sub_clamp_u32 v5, off, s[8:11], s3 offset:7 th:TH_ATOMIC_RETURN ; encoding: [0x03,0x00,0x0d,0xc4,0x05,0x10,0x90,0x00,0x00,0x07,0x00,0x00]

buffer_atomic_sub_clamp_u32 v5, off, s[8:11], s3 offset:7 th:TH_ATOMIC_RT_RETURN scope:SCOPE_SE
// GFX13: buffer_atomic_sub_clamp_u32 v5, off, s[8:11], s3 offset:7 th:TH_ATOMIC_RETURN scope:SCOPE_SE ; encoding: [0x03,0x00,0x0d,0xc4,0x05,0x10,0x94,0x00,0x00,0x07,0x00,0x00]

buffer_atomic_sub_clamp_u32 v5, off, s[8:11], s3 offset:7 th:TH_ATOMIC_CASCADE_NT scope:SCOPE_DEV
// GFX13: buffer_atomic_sub_clamp_u32 v5, off, s[8:11], s3 offset:7 th:TH_ATOMIC_CASCADE_NT scope:SCOPE_DEV ; encoding: [0x03,0x00,0x0d,0xc4,0x05,0x10,0xe8,0x00,0x00,0x07,0x00,0x00]

buffer_atomic_sub_clamp_u32 v5, off, s[8:11], s3 offset:8388607 th:TH_ATOMIC_RETURN
// GFX13: buffer_atomic_sub_clamp_u32 v5, off, s[8:11], s3 offset:8388607 th:TH_ATOMIC_RETURN ; encoding: [0x03,0x00,0x0d,0xc4,0x05,0x10,0x90,0x00,0x00,0xff,0xff,0x7f]

buffer_atomic_sub_clamp_u32 v5, off, s[8:11], s3 offset:8388607 th:TH_ATOMIC_RT_RETURN scope:SCOPE_SE
// GFX13: buffer_atomic_sub_clamp_u32 v5, off, s[8:11], s3 offset:8388607 th:TH_ATOMIC_RETURN scope:SCOPE_SE ; encoding: [0x03,0x00,0x0d,0xc4,0x05,0x10,0x94,0x00,0x00,0xff,0xff,0x7f]

buffer_atomic_sub_clamp_u32 v5, off, s[8:11], s3 offset:8388607 th:TH_ATOMIC_CASCADE_NT scope:SCOPE_DEV
// GFX13: buffer_atomic_sub_clamp_u32 v5, off, s[8:11], s3 offset:8388607 th:TH_ATOMIC_CASCADE_NT scope:SCOPE_DEV ; encoding: [0x03,0x00,0x0d,0xc4,0x05,0x10,0xe8,0x00,0x00,0xff,0xff,0x7f]

buffer_atomic_cond_sub_u32 v5, off, s[8:11], s3 offset:8388607
// GFX13: buffer_atomic_cond_sub_u32 v5, off, s[8:11], s3 offset:8388607 ; encoding: [0x03,0xc0,0x11,0xc4,0x05,0x10,0x80,0x00,0x00,0xff,0xff,0x7f]

buffer_atomic_cond_sub_u32 v255, off, s[8:11], s3 offset:8388607
// GFX13: buffer_atomic_cond_sub_u32 v255, off, s[8:11], s3 offset:8388607 ; encoding: [0x03,0xc0,0x11,0xc4,0xff,0x10,0x80,0x00,0x00,0xff,0xff,0x7f]
	;; [unrolled: 3-line block ×6, first 2 shown]

buffer_atomic_cond_sub_u32 v5, v0, s[8:11], s3 idxen offset:8388607
// GFX13: buffer_atomic_cond_sub_u32 v5, v0, s[8:11], s3 idxen offset:8388607 ; encoding: [0x03,0xc0,0x11,0xc4,0x05,0x10,0x80,0x80,0x00,0xff,0xff,0x7f]

buffer_atomic_cond_sub_u32 v5, v0, s[8:11], s3 offen offset:8388607
// GFX13: buffer_atomic_cond_sub_u32 v5, v0, s[8:11], s3 offen offset:8388607 ; encoding: [0x03,0xc0,0x11,0xc4,0x05,0x10,0x80,0x40,0x00,0xff,0xff,0x7f]

buffer_atomic_cond_sub_u32 v5, off, s[8:11], s3
// GFX13: buffer_atomic_cond_sub_u32 v5, off, s[8:11], s3 ; encoding: [0x03,0xc0,0x11,0xc4,0x05,0x10,0x80,0x00,0x00,0x00,0x00,0x00]

buffer_atomic_cond_sub_u32 v5, off, s[8:11], s3 offset:0
// GFX13: buffer_atomic_cond_sub_u32 v5, off, s[8:11], s3 ; encoding: [0x03,0xc0,0x11,0xc4,0x05,0x10,0x80,0x00,0x00,0x00,0x00,0x00]

buffer_atomic_cond_sub_u32 v5, off, s[8:11], s3 offset:7
// GFX13: buffer_atomic_cond_sub_u32 v5, off, s[8:11], s3 offset:7 ; encoding: [0x03,0xc0,0x11,0xc4,0x05,0x10,0x80,0x00,0x00,0x07,0x00,0x00]

buffer_atomic_cond_sub_u32 v5, off, s[8:11], s3 offset:8388607 th:TH_ATOMIC_RETURN
// GFX13: buffer_atomic_cond_sub_u32 v5, off, s[8:11], s3 offset:8388607 th:TH_ATOMIC_RETURN ; encoding: [0x03,0xc0,0x11,0xc4,0x05,0x10,0x90,0x00,0x00,0xff,0xff,0x7f]

buffer_atomic_cond_sub_u32 v5, off, s[8:11], s3 offset:8388607 th:TH_ATOMIC_RT_RETURN scope:SCOPE_SE
// GFX13: buffer_atomic_cond_sub_u32 v5, off, s[8:11], s3 offset:8388607 th:TH_ATOMIC_RETURN scope:SCOPE_SE ; encoding: [0x03,0xc0,0x11,0xc4,0x05,0x10,0x94,0x00,0x00,0xff,0xff,0x7f]

buffer_atomic_cond_sub_u32 v5, off, s[8:11], s3 offset:8388607 th:TH_ATOMIC_CASCADE_NT scope:SCOPE_DEV
// GFX13: buffer_atomic_cond_sub_u32 v5, off, s[8:11], s3 offset:8388607 th:TH_ATOMIC_CASCADE_NT scope:SCOPE_DEV ; encoding: [0x03,0xc0,0x11,0xc4,0x05,0x10,0xe8,0x00,0x00,0xff,0xff,0x7f]

buffer_atomic_dec_u32 v5, off, s[8:11], s3 offset:8388607
// GFX13: buffer_atomic_dec_u32 v5, off, s[8:11], s3 offset:8388607 ; encoding: [0x03,0x40,0x0f,0xc4,0x05,0x10,0x80,0x00,0x00,0xff,0xff,0x7f]

buffer_atomic_dec_u32 v255, off, s[8:11], s3 offset:8388607
// GFX13: buffer_atomic_dec_u32 v255, off, s[8:11], s3 offset:8388607 ; encoding: [0x03,0x40,0x0f,0xc4,0xff,0x10,0x80,0x00,0x00,0xff,0xff,0x7f]
	;; [unrolled: 3-line block ×6, first 2 shown]

buffer_atomic_dec_u32 v5, v0, s[8:11], s3 idxen offset:8388607
// GFX13: buffer_atomic_dec_u32 v5, v0, s[8:11], s3 idxen offset:8388607 ; encoding: [0x03,0x40,0x0f,0xc4,0x05,0x10,0x80,0x80,0x00,0xff,0xff,0x7f]

buffer_atomic_dec_u32 v5, v0, s[8:11], s3 offen offset:8388607
// GFX13: buffer_atomic_dec_u32 v5, v0, s[8:11], s3 offen offset:8388607 ; encoding: [0x03,0x40,0x0f,0xc4,0x05,0x10,0x80,0x40,0x00,0xff,0xff,0x7f]

buffer_atomic_dec_u32 v5, off, s[8:11], s3
// GFX13: buffer_atomic_dec_u32 v5, off, s[8:11], s3 ; encoding: [0x03,0x40,0x0f,0xc4,0x05,0x10,0x80,0x00,0x00,0x00,0x00,0x00]

buffer_atomic_dec_u32 v5, off, s[8:11], s3 offset:0
// GFX13: buffer_atomic_dec_u32 v5, off, s[8:11], s3 ; encoding: [0x03,0x40,0x0f,0xc4,0x05,0x10,0x80,0x00,0x00,0x00,0x00,0x00]

buffer_atomic_dec_u32 v5, off, s[8:11], s3 offset:7
// GFX13: buffer_atomic_dec_u32 v5, off, s[8:11], s3 offset:7 ; encoding: [0x03,0x40,0x0f,0xc4,0x05,0x10,0x80,0x00,0x00,0x07,0x00,0x00]

buffer_atomic_dec_u32 v5, off, s[8:11], s3 offset:8388607 th:TH_ATOMIC_RETURN
// GFX13: buffer_atomic_dec_u32 v5, off, s[8:11], s3 offset:8388607 th:TH_ATOMIC_RETURN ; encoding: [0x03,0x40,0x0f,0xc4,0x05,0x10,0x90,0x00,0x00,0xff,0xff,0x7f]

buffer_atomic_dec_u32 v5, off, s[8:11], s3 offset:8388607 th:TH_ATOMIC_RT_RETURN scope:SCOPE_SE
// GFX13: buffer_atomic_dec_u32 v5, off, s[8:11], s3 offset:8388607 th:TH_ATOMIC_RETURN scope:SCOPE_SE ; encoding: [0x03,0x40,0x0f,0xc4,0x05,0x10,0x94,0x00,0x00,0xff,0xff,0x7f]

buffer_atomic_dec_u32 v5, off, s[8:11], s3 offset:8388607 th:TH_ATOMIC_CASCADE_NT scope:SCOPE_DEV
// GFX13: buffer_atomic_dec_u32 v5, off, s[8:11], s3 offset:8388607 th:TH_ATOMIC_CASCADE_NT scope:SCOPE_DEV ; encoding: [0x03,0x40,0x0f,0xc4,0x05,0x10,0xe8,0x00,0x00,0xff,0xff,0x7f]

buffer_atomic_dec_u64 v[5:6], off, s[8:11], s3 offset:8388607
// GFX1250-ERR: :[[@LINE-1]]:23: error: invalid operand for instruction
// GFX13: buffer_atomic_dec_u64 v[5:6], off, s[8:11], s3 offset:8388607 ; encoding: [0x03,0x40,0x17,0xc4,0x05,0x10,0x80,0x00,0x00,0xff,0xff,0x7f]

buffer_atomic_dec_u64 v[254:255], off, s[8:11], s3 offset:8388607
// GFX13: buffer_atomic_dec_u64 v[254:255], off, s[8:11], s3 offset:8388607 ; encoding: [0x03,0x40,0x17,0xc4,0xfe,0x10,0x80,0x00,0x00,0xff,0xff,0x7f]

buffer_atomic_dec_u64 v[5:6], off, s[12:15], s3 offset:8388607
// GFX1250-ERR: :[[@LINE-1]]:23: error: invalid operand for instruction
// GFX13: buffer_atomic_dec_u64 v[5:6], off, s[12:15], s3 offset:8388607 ; encoding: [0x03,0x40,0x17,0xc4,0x05,0x18,0x80,0x00,0x00,0xff,0xff,0x7f]

buffer_atomic_dec_u64 v[5:6], off, s[96:99], s3 offset:8388607
// GFX1250-ERR: :[[@LINE-1]]:23: error: invalid operand for instruction
	;; [unrolled: 4-line block ×4, first 2 shown]
// GFX13: buffer_atomic_dec_u64 v[5:6], off, s[8:11], m0 offset:8388607 ; encoding: [0x7d,0x40,0x17,0xc4,0x05,0x10,0x80,0x00,0x00,0xff,0xff,0x7f]

buffer_atomic_dec_u64 v[5:6], v0, s[8:11], s3 idxen offset:8388607
// GFX1250-ERR: :[[@LINE-1]]:23: error: invalid operand for instruction
// GFX13: buffer_atomic_dec_u64 v[5:6], v0, s[8:11], s3 idxen offset:8388607 ; encoding: [0x03,0x40,0x17,0xc4,0x05,0x10,0x80,0x80,0x00,0xff,0xff,0x7f]

buffer_atomic_dec_u64 v[5:6], v0, s[8:11], s3 offen offset:8388607
// GFX1250-ERR: :[[@LINE-1]]:23: error: invalid operand for instruction
// GFX13: buffer_atomic_dec_u64 v[5:6], v0, s[8:11], s3 offen offset:8388607 ; encoding: [0x03,0x40,0x17,0xc4,0x05,0x10,0x80,0x40,0x00,0xff,0xff,0x7f]

buffer_atomic_dec_u64 v[5:6], off, s[8:11], s3
// GFX1250-ERR: :[[@LINE-1]]:23: error: invalid operand for instruction
// GFX13: buffer_atomic_dec_u64 v[5:6], off, s[8:11], s3 ; encoding: [0x03,0x40,0x17,0xc4,0x05,0x10,0x80,0x00,0x00,0x00,0x00,0x00]

buffer_atomic_dec_u64 v[5:6], off, s[8:11], s3 offset:0
// GFX1250-ERR: :[[@LINE-1]]:23: error: invalid operand for instruction
// GFX13: buffer_atomic_dec_u64 v[5:6], off, s[8:11], s3 ; encoding: [0x03,0x40,0x17,0xc4,0x05,0x10,0x80,0x00,0x00,0x00,0x00,0x00]

buffer_atomic_dec_u64 v[5:6], off, s[8:11], s3 offset:7
// GFX1250-ERR: :[[@LINE-1]]:23: error: invalid operand for instruction
// GFX13: buffer_atomic_dec_u64 v[5:6], off, s[8:11], s3 offset:7 ; encoding: [0x03,0x40,0x17,0xc4,0x05,0x10,0x80,0x00,0x00,0x07,0x00,0x00]

buffer_atomic_dec_u64 v[5:6], off, s[8:11], s3 offset:8388607 th:TH_ATOMIC_RETURN
// GFX1250-ERR: :[[@LINE-1]]:23: error: invalid operand for instruction
// GFX13: buffer_atomic_dec_u64 v[5:6], off, s[8:11], s3 offset:8388607 th:TH_ATOMIC_RETURN ; encoding: [0x03,0x40,0x17,0xc4,0x05,0x10,0x90,0x00,0x00,0xff,0xff,0x7f]

buffer_atomic_dec_u64 v[5:6], off, s[8:11], s3 offset:8388607 th:TH_ATOMIC_RT_RETURN scope:SCOPE_SE
// GFX1250-ERR: :[[@LINE-1]]:23: error: invalid operand for instruction
// GFX13: buffer_atomic_dec_u64 v[5:6], off, s[8:11], s3 offset:8388607 th:TH_ATOMIC_RETURN scope:SCOPE_SE ; encoding: [0x03,0x40,0x17,0xc4,0x05,0x10,0x94,0x00,0x00,0xff,0xff,0x7f]

buffer_atomic_dec_u64 v[5:6], off, s[8:11], s3 offset:8388607 th:TH_ATOMIC_CASCADE_NT scope:SCOPE_DEV
// GFX1250-ERR: :[[@LINE-1]]:23: error: invalid operand for instruction
// GFX13: buffer_atomic_dec_u64 v[5:6], off, s[8:11], s3 offset:8388607 th:TH_ATOMIC_CASCADE_NT scope:SCOPE_DEV ; encoding: [0x03,0x40,0x17,0xc4,0x05,0x10,0xe8,0x00,0x00,0xff,0xff,0x7f]

buffer_atomic_inc_u32 v5, off, s[8:11], s3 offset:8388607
// GFX13: buffer_atomic_inc_u32 v5, off, s[8:11], s3 offset:8388607 ; encoding: [0x03,0x00,0x0f,0xc4,0x05,0x10,0x80,0x00,0x00,0xff,0xff,0x7f]

buffer_atomic_inc_u32 v255, off, s[8:11], s3 offset:8388607
// GFX13: buffer_atomic_inc_u32 v255, off, s[8:11], s3 offset:8388607 ; encoding: [0x03,0x00,0x0f,0xc4,0xff,0x10,0x80,0x00,0x00,0xff,0xff,0x7f]
	;; [unrolled: 3-line block ×6, first 2 shown]

buffer_atomic_inc_u32 v5, v0, s[8:11], s3 idxen offset:8388607
// GFX13: buffer_atomic_inc_u32 v5, v0, s[8:11], s3 idxen offset:8388607 ; encoding: [0x03,0x00,0x0f,0xc4,0x05,0x10,0x80,0x80,0x00,0xff,0xff,0x7f]

buffer_atomic_inc_u32 v5, v0, s[8:11], s3 offen offset:8388607
// GFX13: buffer_atomic_inc_u32 v5, v0, s[8:11], s3 offen offset:8388607 ; encoding: [0x03,0x00,0x0f,0xc4,0x05,0x10,0x80,0x40,0x00,0xff,0xff,0x7f]

buffer_atomic_inc_u32 v5, off, s[8:11], s3
// GFX13: buffer_atomic_inc_u32 v5, off, s[8:11], s3 ; encoding: [0x03,0x00,0x0f,0xc4,0x05,0x10,0x80,0x00,0x00,0x00,0x00,0x00]

buffer_atomic_inc_u32 v5, off, s[8:11], s3 offset:0
// GFX13: buffer_atomic_inc_u32 v5, off, s[8:11], s3 ; encoding: [0x03,0x00,0x0f,0xc4,0x05,0x10,0x80,0x00,0x00,0x00,0x00,0x00]

buffer_atomic_inc_u32 v5, off, s[8:11], s3 offset:7
// GFX13: buffer_atomic_inc_u32 v5, off, s[8:11], s3 offset:7 ; encoding: [0x03,0x00,0x0f,0xc4,0x05,0x10,0x80,0x00,0x00,0x07,0x00,0x00]

buffer_atomic_inc_u32 v5, off, s[8:11], s3 offset:8388607 th:TH_ATOMIC_RETURN
// GFX13: buffer_atomic_inc_u32 v5, off, s[8:11], s3 offset:8388607 th:TH_ATOMIC_RETURN ; encoding: [0x03,0x00,0x0f,0xc4,0x05,0x10,0x90,0x00,0x00,0xff,0xff,0x7f]

buffer_atomic_inc_u32 v5, off, s[8:11], s3 offset:8388607 th:TH_ATOMIC_RT_RETURN scope:SCOPE_SE
// GFX13: buffer_atomic_inc_u32 v5, off, s[8:11], s3 offset:8388607 th:TH_ATOMIC_RETURN scope:SCOPE_SE ; encoding: [0x03,0x00,0x0f,0xc4,0x05,0x10,0x94,0x00,0x00,0xff,0xff,0x7f]

buffer_atomic_inc_u32 v5, off, s[8:11], s3 offset:8388607 th:TH_ATOMIC_CASCADE_NT scope:SCOPE_DEV
// GFX13: buffer_atomic_inc_u32 v5, off, s[8:11], s3 offset:8388607 th:TH_ATOMIC_CASCADE_NT scope:SCOPE_DEV ; encoding: [0x03,0x00,0x0f,0xc4,0x05,0x10,0xe8,0x00,0x00,0xff,0xff,0x7f]

buffer_atomic_inc_u64 v[5:6], off, s[8:11], s3 offset:8388607
// GFX1250-ERR: :[[@LINE-1]]:23: error: invalid operand for instruction
// GFX13: buffer_atomic_inc_u64 v[5:6], off, s[8:11], s3 offset:8388607 ; encoding: [0x03,0x00,0x17,0xc4,0x05,0x10,0x80,0x00,0x00,0xff,0xff,0x7f]

buffer_atomic_inc_u64 v[254:255], off, s[8:11], s3 offset:8388607
// GFX13: buffer_atomic_inc_u64 v[254:255], off, s[8:11], s3 offset:8388607 ; encoding: [0x03,0x00,0x17,0xc4,0xfe,0x10,0x80,0x00,0x00,0xff,0xff,0x7f]

buffer_atomic_inc_u64 v[5:6], off, s[12:15], s3 offset:8388607
// GFX1250-ERR: :[[@LINE-1]]:23: error: invalid operand for instruction
// GFX13: buffer_atomic_inc_u64 v[5:6], off, s[12:15], s3 offset:8388607 ; encoding: [0x03,0x00,0x17,0xc4,0x05,0x18,0x80,0x00,0x00,0xff,0xff,0x7f]

buffer_atomic_inc_u64 v[5:6], off, s[96:99], s3 offset:8388607
// GFX1250-ERR: :[[@LINE-1]]:23: error: invalid operand for instruction
// GFX13: buffer_atomic_inc_u64 v[5:6], off, s[96:99], s3 offset:8388607 ; encoding: [0x03,0x00,0x17,0xc4,0x05,0xc0,0x80,0x00,0x00,0xff,0xff,0x7f]

buffer_atomic_inc_u64 v[5:6], off, s[8:11], s101 offset:8388607
// GFX1250-ERR: :[[@LINE-1]]:23: error: invalid operand for instruction
// GFX13: buffer_atomic_inc_u64 v[5:6], off, s[8:11], s101 offset:8388607 ; encoding: [0x65,0x00,0x17,0xc4,0x05,0x10,0x80,0x00,0x00,0xff,0xff,0x7f]

buffer_atomic_inc_u64 v[5:6], off, s[8:11], m0 offset:8388607
// GFX1250-ERR: :[[@LINE-1]]:23: error: invalid operand for instruction
// GFX13: buffer_atomic_inc_u64 v[5:6], off, s[8:11], m0 offset:8388607 ; encoding: [0x7d,0x00,0x17,0xc4,0x05,0x10,0x80,0x00,0x00,0xff,0xff,0x7f]

buffer_atomic_inc_u64 v[5:6], v0, s[8:11], s3 idxen offset:8388607
// GFX1250-ERR: :[[@LINE-1]]:23: error: invalid operand for instruction
// GFX13: buffer_atomic_inc_u64 v[5:6], v0, s[8:11], s3 idxen offset:8388607 ; encoding: [0x03,0x00,0x17,0xc4,0x05,0x10,0x80,0x80,0x00,0xff,0xff,0x7f]

buffer_atomic_inc_u64 v[5:6], v0, s[8:11], s3 offen offset:8388607
// GFX1250-ERR: :[[@LINE-1]]:23: error: invalid operand for instruction
// GFX13: buffer_atomic_inc_u64 v[5:6], v0, s[8:11], s3 offen offset:8388607 ; encoding: [0x03,0x00,0x17,0xc4,0x05,0x10,0x80,0x40,0x00,0xff,0xff,0x7f]

buffer_atomic_inc_u64 v[5:6], off, s[8:11], s3
// GFX1250-ERR: :[[@LINE-1]]:23: error: invalid operand for instruction
// GFX13: buffer_atomic_inc_u64 v[5:6], off, s[8:11], s3 ; encoding: [0x03,0x00,0x17,0xc4,0x05,0x10,0x80,0x00,0x00,0x00,0x00,0x00]

buffer_atomic_inc_u64 v[5:6], off, s[8:11], s3 offset:0
// GFX1250-ERR: :[[@LINE-1]]:23: error: invalid operand for instruction
// GFX13: buffer_atomic_inc_u64 v[5:6], off, s[8:11], s3 ; encoding: [0x03,0x00,0x17,0xc4,0x05,0x10,0x80,0x00,0x00,0x00,0x00,0x00]

buffer_atomic_inc_u64 v[5:6], off, s[8:11], s3 offset:7
// GFX1250-ERR: :[[@LINE-1]]:23: error: invalid operand for instruction
// GFX13: buffer_atomic_inc_u64 v[5:6], off, s[8:11], s3 offset:7 ; encoding: [0x03,0x00,0x17,0xc4,0x05,0x10,0x80,0x00,0x00,0x07,0x00,0x00]

buffer_atomic_inc_u64 v[5:6], off, s[8:11], s3 offset:8388607 th:TH_ATOMIC_RETURN
// GFX1250-ERR: :[[@LINE-1]]:23: error: invalid operand for instruction
// GFX13: buffer_atomic_inc_u64 v[5:6], off, s[8:11], s3 offset:8388607 th:TH_ATOMIC_RETURN ; encoding: [0x03,0x00,0x17,0xc4,0x05,0x10,0x90,0x00,0x00,0xff,0xff,0x7f]

buffer_atomic_inc_u64 v[5:6], off, s[8:11], s3 offset:8388607 th:TH_ATOMIC_RT_RETURN scope:SCOPE_SE
// GFX1250-ERR: :[[@LINE-1]]:23: error: invalid operand for instruction
// GFX13: buffer_atomic_inc_u64 v[5:6], off, s[8:11], s3 offset:8388607 th:TH_ATOMIC_RETURN scope:SCOPE_SE ; encoding: [0x03,0x00,0x17,0xc4,0x05,0x10,0x94,0x00,0x00,0xff,0xff,0x7f]

buffer_atomic_inc_u64 v[5:6], off, s[8:11], s3 offset:8388607 th:TH_ATOMIC_CASCADE_NT scope:SCOPE_DEV
// GFX1250-ERR: :[[@LINE-1]]:23: error: invalid operand for instruction
// GFX13: buffer_atomic_inc_u64 v[5:6], off, s[8:11], s3 offset:8388607 th:TH_ATOMIC_CASCADE_NT scope:SCOPE_DEV ; encoding: [0x03,0x00,0x17,0xc4,0x05,0x10,0xe8,0x00,0x00,0xff,0xff,0x7f]

buffer_atomic_max_num_f32 v5, off, s[8:11], s3 offset:8388607
// GFX13: buffer_atomic_max_num_f32 v5, off, s[8:11], s3 offset:8388607 ; encoding: [0x03,0x00,0x10,0xc4,0x05,0x10,0x80,0x00,0x00,0xff,0xff,0x7f]

buffer_atomic_max_num_f32 v255, off, s[8:11], s3 offset:8388607
// GFX13: buffer_atomic_max_num_f32 v255, off, s[8:11], s3 offset:8388607 ; encoding: [0x03,0x00,0x10,0xc4,0xff,0x10,0x80,0x00,0x00,0xff,0xff,0x7f]
	;; [unrolled: 3-line block ×6, first 2 shown]

buffer_atomic_max_num_f32 v5, v0, s[8:11], s3 idxen offset:8388607
// GFX13: buffer_atomic_max_num_f32 v5, v0, s[8:11], s3 idxen offset:8388607 ; encoding: [0x03,0x00,0x10,0xc4,0x05,0x10,0x80,0x80,0x00,0xff,0xff,0x7f]

buffer_atomic_max_num_f32 v5, v0, s[8:11], s3 offen offset:8388607
// GFX13: buffer_atomic_max_num_f32 v5, v0, s[8:11], s3 offen offset:8388607 ; encoding: [0x03,0x00,0x10,0xc4,0x05,0x10,0x80,0x40,0x00,0xff,0xff,0x7f]

buffer_atomic_max_num_f32 v5, off, s[8:11], s3
// GFX13: buffer_atomic_max_num_f32 v5, off, s[8:11], s3 ; encoding: [0x03,0x00,0x10,0xc4,0x05,0x10,0x80,0x00,0x00,0x00,0x00,0x00]

buffer_atomic_max_num_f32 v5, off, s[8:11], s3 offset:0
// GFX13: buffer_atomic_max_num_f32 v5, off, s[8:11], s3 ; encoding: [0x03,0x00,0x10,0xc4,0x05,0x10,0x80,0x00,0x00,0x00,0x00,0x00]

buffer_atomic_max_num_f32 v5, off, s[8:11], s3 offset:7
// GFX13: buffer_atomic_max_num_f32 v5, off, s[8:11], s3 offset:7 ; encoding: [0x03,0x00,0x10,0xc4,0x05,0x10,0x80,0x00,0x00,0x07,0x00,0x00]

buffer_atomic_max_num_f32 v5, off, s[8:11], s3 offset:8388607 th:TH_ATOMIC_RETURN
// GFX13: buffer_atomic_max_num_f32 v5, off, s[8:11], s3 offset:8388607 th:TH_ATOMIC_RETURN ; encoding: [0x03,0x00,0x10,0xc4,0x05,0x10,0x90,0x00,0x00,0xff,0xff,0x7f]

buffer_atomic_max_num_f32 v5, off, s[8:11], s3 offset:8388607 th:TH_ATOMIC_RT_RETURN scope:SCOPE_SE
// GFX13: buffer_atomic_max_num_f32 v5, off, s[8:11], s3 offset:8388607 th:TH_ATOMIC_RETURN scope:SCOPE_SE ; encoding: [0x03,0x00,0x10,0xc4,0x05,0x10,0x94,0x00,0x00,0xff,0xff,0x7f]

buffer_atomic_max_num_f32 v5, off, s[8:11], s3 offset:8388607 th:TH_ATOMIC_CASCADE_NT scope:SCOPE_DEV
// GFX13: buffer_atomic_max_num_f32 v5, off, s[8:11], s3 offset:8388607 th:TH_ATOMIC_CASCADE_NT scope:SCOPE_DEV ; encoding: [0x03,0x00,0x10,0xc4,0x05,0x10,0xe8,0x00,0x00,0xff,0xff,0x7f]

buffer_atomic_max_num_f64 v[5:6], off, s[8:11], s3 offset:8388607
// GFX1250-ERR: :[[@LINE-1]]:27: error: invalid operand for instruction
// GFX13: buffer_atomic_max_num_f64 v[5:6], off, s[8:11], s3 offset:8388607 ; encoding: [0x03,0x00,0x18,0xc4,0x05,0x10,0x80,0x00,0x00,0xff,0xff,0x7f]

buffer_atomic_max_num_f64 v[254:255], off, s[8:11], s3 offset:8388607
// GFX13: buffer_atomic_max_num_f64 v[254:255], off, s[8:11], s3 offset:8388607 ; encoding: [0x03,0x00,0x18,0xc4,0xfe,0x10,0x80,0x00,0x00,0xff,0xff,0x7f]

buffer_atomic_max_num_f64 v[5:6], off, s[12:15], s3 offset:8388607
// GFX1250-ERR: :[[@LINE-1]]:27: error: invalid operand for instruction
// GFX13: buffer_atomic_max_num_f64 v[5:6], off, s[12:15], s3 offset:8388607 ; encoding: [0x03,0x00,0x18,0xc4,0x05,0x18,0x80,0x00,0x00,0xff,0xff,0x7f]

buffer_atomic_max_num_f64 v[5:6], off, s[96:99], s3 offset:8388607
// GFX1250-ERR: :[[@LINE-1]]:27: error: invalid operand for instruction
	;; [unrolled: 4-line block ×4, first 2 shown]
// GFX13: buffer_atomic_max_num_f64 v[5:6], off, s[8:11], m0 offset:8388607 ; encoding: [0x7d,0x00,0x18,0xc4,0x05,0x10,0x80,0x00,0x00,0xff,0xff,0x7f]

buffer_atomic_max_num_f64 v[5:6], v0, s[8:11], s3 idxen offset:8388607
// GFX1250-ERR: :[[@LINE-1]]:27: error: invalid operand for instruction
// GFX13: buffer_atomic_max_num_f64 v[5:6], v0, s[8:11], s3 idxen offset:8388607 ; encoding: [0x03,0x00,0x18,0xc4,0x05,0x10,0x80,0x80,0x00,0xff,0xff,0x7f]

buffer_atomic_max_num_f64 v[5:6], v0, s[8:11], s3 offen offset:8388607
// GFX1250-ERR: :[[@LINE-1]]:27: error: invalid operand for instruction
// GFX13: buffer_atomic_max_num_f64 v[5:6], v0, s[8:11], s3 offen offset:8388607 ; encoding: [0x03,0x00,0x18,0xc4,0x05,0x10,0x80,0x40,0x00,0xff,0xff,0x7f]

buffer_atomic_max_num_f64 v[5:6], off, s[8:11], s3
// GFX1250-ERR: :[[@LINE-1]]:27: error: invalid operand for instruction
// GFX13: buffer_atomic_max_num_f64 v[5:6], off, s[8:11], s3 ; encoding: [0x03,0x00,0x18,0xc4,0x05,0x10,0x80,0x00,0x00,0x00,0x00,0x00]

buffer_atomic_max_num_f64 v[5:6], off, s[8:11], s3 offset:0
// GFX1250-ERR: :[[@LINE-1]]:27: error: invalid operand for instruction
// GFX13: buffer_atomic_max_num_f64 v[5:6], off, s[8:11], s3 ; encoding: [0x03,0x00,0x18,0xc4,0x05,0x10,0x80,0x00,0x00,0x00,0x00,0x00]

buffer_atomic_max_num_f64 v[5:6], off, s[8:11], s3 offset:7
// GFX1250-ERR: :[[@LINE-1]]:27: error: invalid operand for instruction
// GFX13: buffer_atomic_max_num_f64 v[5:6], off, s[8:11], s3 offset:7 ; encoding: [0x03,0x00,0x18,0xc4,0x05,0x10,0x80,0x00,0x00,0x07,0x00,0x00]

buffer_atomic_max_num_f64 v[5:6], off, s[8:11], s3 offset:8388607 th:TH_ATOMIC_RETURN
// GFX1250-ERR: :[[@LINE-1]]:27: error: invalid operand for instruction
// GFX13: buffer_atomic_max_num_f64 v[5:6], off, s[8:11], s3 offset:8388607 th:TH_ATOMIC_RETURN ; encoding: [0x03,0x00,0x18,0xc4,0x05,0x10,0x90,0x00,0x00,0xff,0xff,0x7f]

buffer_atomic_max_num_f64 v[5:6], off, s[8:11], s3 offset:8388607 th:TH_ATOMIC_RT_RETURN scope:SCOPE_SE
// GFX1250-ERR: :[[@LINE-1]]:27: error: invalid operand for instruction
// GFX13: buffer_atomic_max_num_f64 v[5:6], off, s[8:11], s3 offset:8388607 th:TH_ATOMIC_RETURN scope:SCOPE_SE ; encoding: [0x03,0x00,0x18,0xc4,0x05,0x10,0x94,0x00,0x00,0xff,0xff,0x7f]

buffer_atomic_max_num_f64 v[5:6], off, s[8:11], s3 offset:8388607 th:TH_ATOMIC_CASCADE_NT scope:SCOPE_DEV
// GFX1250-ERR: :[[@LINE-1]]:27: error: invalid operand for instruction
// GFX13: buffer_atomic_max_num_f64 v[5:6], off, s[8:11], s3 offset:8388607 th:TH_ATOMIC_CASCADE_NT scope:SCOPE_DEV ; encoding: [0x03,0x00,0x18,0xc4,0x05,0x10,0xe8,0x00,0x00,0xff,0xff,0x7f]

buffer_atomic_max_i32 v5, off, s[8:11], s3 offset:8388607
// GFX13: buffer_atomic_max_i32 v5, off, s[8:11], s3 offset:8388607 ; encoding: [0x03,0xc0,0x0d,0xc4,0x05,0x10,0x80,0x00,0x00,0xff,0xff,0x7f]

buffer_atomic_max_i32 v255, off, s[8:11], s3 offset:8388607
// GFX13: buffer_atomic_max_i32 v255, off, s[8:11], s3 offset:8388607 ; encoding: [0x03,0xc0,0x0d,0xc4,0xff,0x10,0x80,0x00,0x00,0xff,0xff,0x7f]
	;; [unrolled: 3-line block ×6, first 2 shown]

buffer_atomic_max_i32 v5, v0, s[8:11], s3 idxen offset:8388607
// GFX13: buffer_atomic_max_i32 v5, v0, s[8:11], s3 idxen offset:8388607 ; encoding: [0x03,0xc0,0x0d,0xc4,0x05,0x10,0x80,0x80,0x00,0xff,0xff,0x7f]

buffer_atomic_max_i32 v5, v0, s[8:11], s3 offen offset:8388607
// GFX13: buffer_atomic_max_i32 v5, v0, s[8:11], s3 offen offset:8388607 ; encoding: [0x03,0xc0,0x0d,0xc4,0x05,0x10,0x80,0x40,0x00,0xff,0xff,0x7f]

buffer_atomic_max_i32 v5, off, s[8:11], s3
// GFX13: buffer_atomic_max_i32 v5, off, s[8:11], s3 ; encoding: [0x03,0xc0,0x0d,0xc4,0x05,0x10,0x80,0x00,0x00,0x00,0x00,0x00]

buffer_atomic_max_i32 v5, off, s[8:11], s3 offset:0
// GFX13: buffer_atomic_max_i32 v5, off, s[8:11], s3 ; encoding: [0x03,0xc0,0x0d,0xc4,0x05,0x10,0x80,0x00,0x00,0x00,0x00,0x00]

buffer_atomic_max_i32 v5, off, s[8:11], s3 offset:7
// GFX13: buffer_atomic_max_i32 v5, off, s[8:11], s3 offset:7 ; encoding: [0x03,0xc0,0x0d,0xc4,0x05,0x10,0x80,0x00,0x00,0x07,0x00,0x00]

buffer_atomic_max_i32 v5, off, s[8:11], s3 offset:8388607 th:TH_ATOMIC_RETURN
// GFX13: buffer_atomic_max_i32 v5, off, s[8:11], s3 offset:8388607 th:TH_ATOMIC_RETURN ; encoding: [0x03,0xc0,0x0d,0xc4,0x05,0x10,0x90,0x00,0x00,0xff,0xff,0x7f]

buffer_atomic_max_i32 v5, off, s[8:11], s3 offset:8388607 th:TH_ATOMIC_RT_RETURN scope:SCOPE_SE
// GFX13: buffer_atomic_max_i32 v5, off, s[8:11], s3 offset:8388607 th:TH_ATOMIC_RETURN scope:SCOPE_SE ; encoding: [0x03,0xc0,0x0d,0xc4,0x05,0x10,0x94,0x00,0x00,0xff,0xff,0x7f]

buffer_atomic_max_i32 v5, off, s[8:11], s3 offset:8388607 th:TH_ATOMIC_CASCADE_NT scope:SCOPE_DEV
// GFX13: buffer_atomic_max_i32 v5, off, s[8:11], s3 offset:8388607 th:TH_ATOMIC_CASCADE_NT scope:SCOPE_DEV ; encoding: [0x03,0xc0,0x0d,0xc4,0x05,0x10,0xe8,0x00,0x00,0xff,0xff,0x7f]

buffer_atomic_max_i64 v[5:6], off, s[8:11], s3 offset:8388607
// GFX1250-ERR: :[[@LINE-1]]:23: error: invalid operand for instruction
// GFX13: buffer_atomic_max_i64 v[5:6], off, s[8:11], s3 offset:8388607 ; encoding: [0x03,0xc0,0x15,0xc4,0x05,0x10,0x80,0x00,0x00,0xff,0xff,0x7f]

buffer_atomic_max_i64 v[254:255], off, s[8:11], s3 offset:8388607
// GFX13: buffer_atomic_max_i64 v[254:255], off, s[8:11], s3 offset:8388607 ; encoding: [0x03,0xc0,0x15,0xc4,0xfe,0x10,0x80,0x00,0x00,0xff,0xff,0x7f]

buffer_atomic_max_i64 v[5:6], off, s[12:15], s3 offset:8388607
// GFX1250-ERR: :[[@LINE-1]]:23: error: invalid operand for instruction
// GFX13: buffer_atomic_max_i64 v[5:6], off, s[12:15], s3 offset:8388607 ; encoding: [0x03,0xc0,0x15,0xc4,0x05,0x18,0x80,0x00,0x00,0xff,0xff,0x7f]

buffer_atomic_max_i64 v[5:6], off, s[96:99], s3 offset:8388607
// GFX1250-ERR: :[[@LINE-1]]:23: error: invalid operand for instruction
	;; [unrolled: 4-line block ×4, first 2 shown]
// GFX13: buffer_atomic_max_i64 v[5:6], off, s[8:11], m0 offset:8388607 ; encoding: [0x7d,0xc0,0x15,0xc4,0x05,0x10,0x80,0x00,0x00,0xff,0xff,0x7f]

buffer_atomic_max_i64 v[5:6], v0, s[8:11], s3 idxen offset:8388607
// GFX1250-ERR: :[[@LINE-1]]:23: error: invalid operand for instruction
// GFX13: buffer_atomic_max_i64 v[5:6], v0, s[8:11], s3 idxen offset:8388607 ; encoding: [0x03,0xc0,0x15,0xc4,0x05,0x10,0x80,0x80,0x00,0xff,0xff,0x7f]

buffer_atomic_max_i64 v[5:6], v0, s[8:11], s3 offen offset:8388607
// GFX1250-ERR: :[[@LINE-1]]:23: error: invalid operand for instruction
// GFX13: buffer_atomic_max_i64 v[5:6], v0, s[8:11], s3 offen offset:8388607 ; encoding: [0x03,0xc0,0x15,0xc4,0x05,0x10,0x80,0x40,0x00,0xff,0xff,0x7f]

buffer_atomic_max_i64 v[5:6], off, s[8:11], s3
// GFX1250-ERR: :[[@LINE-1]]:23: error: invalid operand for instruction
// GFX13: buffer_atomic_max_i64 v[5:6], off, s[8:11], s3 ; encoding: [0x03,0xc0,0x15,0xc4,0x05,0x10,0x80,0x00,0x00,0x00,0x00,0x00]

buffer_atomic_max_i64 v[5:6], off, s[8:11], s3 offset:0
// GFX1250-ERR: :[[@LINE-1]]:23: error: invalid operand for instruction
// GFX13: buffer_atomic_max_i64 v[5:6], off, s[8:11], s3 ; encoding: [0x03,0xc0,0x15,0xc4,0x05,0x10,0x80,0x00,0x00,0x00,0x00,0x00]

buffer_atomic_max_i64 v[5:6], off, s[8:11], s3 offset:7
// GFX1250-ERR: :[[@LINE-1]]:23: error: invalid operand for instruction
// GFX13: buffer_atomic_max_i64 v[5:6], off, s[8:11], s3 offset:7 ; encoding: [0x03,0xc0,0x15,0xc4,0x05,0x10,0x80,0x00,0x00,0x07,0x00,0x00]

buffer_atomic_max_i64 v[5:6], off, s[8:11], s3 offset:8388607 th:TH_ATOMIC_RETURN
// GFX1250-ERR: :[[@LINE-1]]:23: error: invalid operand for instruction
// GFX13: buffer_atomic_max_i64 v[5:6], off, s[8:11], s3 offset:8388607 th:TH_ATOMIC_RETURN ; encoding: [0x03,0xc0,0x15,0xc4,0x05,0x10,0x90,0x00,0x00,0xff,0xff,0x7f]

buffer_atomic_max_i64 v[5:6], off, s[8:11], s3 offset:8388607 th:TH_ATOMIC_RT_RETURN scope:SCOPE_SE
// GFX1250-ERR: :[[@LINE-1]]:23: error: invalid operand for instruction
// GFX13: buffer_atomic_max_i64 v[5:6], off, s[8:11], s3 offset:8388607 th:TH_ATOMIC_RETURN scope:SCOPE_SE ; encoding: [0x03,0xc0,0x15,0xc4,0x05,0x10,0x94,0x00,0x00,0xff,0xff,0x7f]

buffer_atomic_max_i64 v[5:6], off, s[8:11], s3 offset:8388607 th:TH_ATOMIC_CASCADE_NT scope:SCOPE_DEV
// GFX1250-ERR: :[[@LINE-1]]:23: error: invalid operand for instruction
// GFX13: buffer_atomic_max_i64 v[5:6], off, s[8:11], s3 offset:8388607 th:TH_ATOMIC_CASCADE_NT scope:SCOPE_DEV ; encoding: [0x03,0xc0,0x15,0xc4,0x05,0x10,0xe8,0x00,0x00,0xff,0xff,0x7f]

buffer_atomic_max_u32 v5, off, s[8:11], s3 offset:8388607
// GFX13: buffer_atomic_max_u32 v5, off, s[8:11], s3 offset:8388607 ; encoding: [0x03,0x00,0x0e,0xc4,0x05,0x10,0x80,0x00,0x00,0xff,0xff,0x7f]

buffer_atomic_max_u32 v255, off, s[8:11], s3 offset:8388607
// GFX13: buffer_atomic_max_u32 v255, off, s[8:11], s3 offset:8388607 ; encoding: [0x03,0x00,0x0e,0xc4,0xff,0x10,0x80,0x00,0x00,0xff,0xff,0x7f]
	;; [unrolled: 3-line block ×6, first 2 shown]

buffer_atomic_max_u32 v5, v0, s[8:11], s3 idxen offset:8388607
// GFX13: buffer_atomic_max_u32 v5, v0, s[8:11], s3 idxen offset:8388607 ; encoding: [0x03,0x00,0x0e,0xc4,0x05,0x10,0x80,0x80,0x00,0xff,0xff,0x7f]

buffer_atomic_max_u32 v5, v0, s[8:11], s3 offen offset:8388607
// GFX13: buffer_atomic_max_u32 v5, v0, s[8:11], s3 offen offset:8388607 ; encoding: [0x03,0x00,0x0e,0xc4,0x05,0x10,0x80,0x40,0x00,0xff,0xff,0x7f]

buffer_atomic_max_u32 v5, off, s[8:11], s3
// GFX13: buffer_atomic_max_u32 v5, off, s[8:11], s3 ; encoding: [0x03,0x00,0x0e,0xc4,0x05,0x10,0x80,0x00,0x00,0x00,0x00,0x00]

buffer_atomic_max_u32 v5, off, s[8:11], s3 offset:0
// GFX13: buffer_atomic_max_u32 v5, off, s[8:11], s3 ; encoding: [0x03,0x00,0x0e,0xc4,0x05,0x10,0x80,0x00,0x00,0x00,0x00,0x00]

buffer_atomic_max_u32 v5, off, s[8:11], s3 offset:7
// GFX13: buffer_atomic_max_u32 v5, off, s[8:11], s3 offset:7 ; encoding: [0x03,0x00,0x0e,0xc4,0x05,0x10,0x80,0x00,0x00,0x07,0x00,0x00]

buffer_atomic_max_u32 v5, off, s[8:11], s3 offset:8388607 th:TH_ATOMIC_RETURN
// GFX13: buffer_atomic_max_u32 v5, off, s[8:11], s3 offset:8388607 th:TH_ATOMIC_RETURN ; encoding: [0x03,0x00,0x0e,0xc4,0x05,0x10,0x90,0x00,0x00,0xff,0xff,0x7f]

buffer_atomic_max_u32 v5, off, s[8:11], s3 offset:8388607 th:TH_ATOMIC_RT_RETURN scope:SCOPE_SE
// GFX13: buffer_atomic_max_u32 v5, off, s[8:11], s3 offset:8388607 th:TH_ATOMIC_RETURN scope:SCOPE_SE ; encoding: [0x03,0x00,0x0e,0xc4,0x05,0x10,0x94,0x00,0x00,0xff,0xff,0x7f]

buffer_atomic_max_u32 v5, off, s[8:11], s3 offset:8388607 th:TH_ATOMIC_CASCADE_NT scope:SCOPE_DEV
// GFX13: buffer_atomic_max_u32 v5, off, s[8:11], s3 offset:8388607 th:TH_ATOMIC_CASCADE_NT scope:SCOPE_DEV ; encoding: [0x03,0x00,0x0e,0xc4,0x05,0x10,0xe8,0x00,0x00,0xff,0xff,0x7f]

buffer_atomic_max_u64 v[5:6], off, s[8:11], s3 offset:8388607
// GFX1250-ERR: :[[@LINE-1]]:23: error: invalid operand for instruction
// GFX13: buffer_atomic_max_u64 v[5:6], off, s[8:11], s3 offset:8388607 ; encoding: [0x03,0x00,0x16,0xc4,0x05,0x10,0x80,0x00,0x00,0xff,0xff,0x7f]

buffer_atomic_max_u64 v[254:255], off, s[8:11], s3 offset:8388607
// GFX13: buffer_atomic_max_u64 v[254:255], off, s[8:11], s3 offset:8388607 ; encoding: [0x03,0x00,0x16,0xc4,0xfe,0x10,0x80,0x00,0x00,0xff,0xff,0x7f]

buffer_atomic_max_u64 v[5:6], off, s[12:15], s3 offset:8388607
// GFX1250-ERR: :[[@LINE-1]]:23: error: invalid operand for instruction
// GFX13: buffer_atomic_max_u64 v[5:6], off, s[12:15], s3 offset:8388607 ; encoding: [0x03,0x00,0x16,0xc4,0x05,0x18,0x80,0x00,0x00,0xff,0xff,0x7f]

buffer_atomic_max_u64 v[5:6], off, s[96:99], s3 offset:8388607
// GFX1250-ERR: :[[@LINE-1]]:23: error: invalid operand for instruction
	;; [unrolled: 4-line block ×4, first 2 shown]
// GFX13: buffer_atomic_max_u64 v[5:6], off, s[8:11], m0 offset:8388607 ; encoding: [0x7d,0x00,0x16,0xc4,0x05,0x10,0x80,0x00,0x00,0xff,0xff,0x7f]

buffer_atomic_max_u64 v[5:6], v0, s[8:11], s3 idxen offset:8388607
// GFX1250-ERR: :[[@LINE-1]]:23: error: invalid operand for instruction
// GFX13: buffer_atomic_max_u64 v[5:6], v0, s[8:11], s3 idxen offset:8388607 ; encoding: [0x03,0x00,0x16,0xc4,0x05,0x10,0x80,0x80,0x00,0xff,0xff,0x7f]

buffer_atomic_max_u64 v[5:6], v0, s[8:11], s3 offen offset:8388607
// GFX1250-ERR: :[[@LINE-1]]:23: error: invalid operand for instruction
// GFX13: buffer_atomic_max_u64 v[5:6], v0, s[8:11], s3 offen offset:8388607 ; encoding: [0x03,0x00,0x16,0xc4,0x05,0x10,0x80,0x40,0x00,0xff,0xff,0x7f]

buffer_atomic_max_u64 v[5:6], off, s[8:11], s3
// GFX1250-ERR: :[[@LINE-1]]:23: error: invalid operand for instruction
// GFX13: buffer_atomic_max_u64 v[5:6], off, s[8:11], s3 ; encoding: [0x03,0x00,0x16,0xc4,0x05,0x10,0x80,0x00,0x00,0x00,0x00,0x00]

buffer_atomic_max_u64 v[5:6], off, s[8:11], s3 offset:0
// GFX1250-ERR: :[[@LINE-1]]:23: error: invalid operand for instruction
// GFX13: buffer_atomic_max_u64 v[5:6], off, s[8:11], s3 ; encoding: [0x03,0x00,0x16,0xc4,0x05,0x10,0x80,0x00,0x00,0x00,0x00,0x00]

buffer_atomic_max_u64 v[5:6], off, s[8:11], s3 offset:7
// GFX1250-ERR: :[[@LINE-1]]:23: error: invalid operand for instruction
// GFX13: buffer_atomic_max_u64 v[5:6], off, s[8:11], s3 offset:7 ; encoding: [0x03,0x00,0x16,0xc4,0x05,0x10,0x80,0x00,0x00,0x07,0x00,0x00]

buffer_atomic_max_u64 v[5:6], off, s[8:11], s3 offset:8388607 th:TH_ATOMIC_RETURN
// GFX1250-ERR: :[[@LINE-1]]:23: error: invalid operand for instruction
// GFX13: buffer_atomic_max_u64 v[5:6], off, s[8:11], s3 offset:8388607 th:TH_ATOMIC_RETURN ; encoding: [0x03,0x00,0x16,0xc4,0x05,0x10,0x90,0x00,0x00,0xff,0xff,0x7f]

buffer_atomic_max_u64 v[5:6], off, s[8:11], s3 offset:8388607 th:TH_ATOMIC_RT_RETURN scope:SCOPE_SE
// GFX1250-ERR: :[[@LINE-1]]:23: error: invalid operand for instruction
// GFX13: buffer_atomic_max_u64 v[5:6], off, s[8:11], s3 offset:8388607 th:TH_ATOMIC_RETURN scope:SCOPE_SE ; encoding: [0x03,0x00,0x16,0xc4,0x05,0x10,0x94,0x00,0x00,0xff,0xff,0x7f]

buffer_atomic_max_u64 v[5:6], off, s[8:11], s3 offset:8388607 th:TH_ATOMIC_CASCADE_NT scope:SCOPE_DEV
// GFX1250-ERR: :[[@LINE-1]]:23: error: invalid operand for instruction
// GFX13: buffer_atomic_max_u64 v[5:6], off, s[8:11], s3 offset:8388607 th:TH_ATOMIC_CASCADE_NT scope:SCOPE_DEV ; encoding: [0x03,0x00,0x16,0xc4,0x05,0x10,0xe8,0x00,0x00,0xff,0xff,0x7f]

buffer_atomic_min_num_f32 v5, off, s[8:11], s3 offset:8388607
// GFX13: buffer_atomic_min_num_f32 v5, off, s[8:11], s3 offset:8388607 ; encoding: [0x03,0xc0,0x0f,0xc4,0x05,0x10,0x80,0x00,0x00,0xff,0xff,0x7f]

buffer_atomic_min_num_f32 v255, off, s[8:11], s3 offset:8388607
// GFX13: buffer_atomic_min_num_f32 v255, off, s[8:11], s3 offset:8388607 ; encoding: [0x03,0xc0,0x0f,0xc4,0xff,0x10,0x80,0x00,0x00,0xff,0xff,0x7f]
	;; [unrolled: 3-line block ×6, first 2 shown]

buffer_atomic_min_num_f32 v5, v0, s[8:11], s3 idxen offset:8388607
// GFX13: buffer_atomic_min_num_f32 v5, v0, s[8:11], s3 idxen offset:8388607 ; encoding: [0x03,0xc0,0x0f,0xc4,0x05,0x10,0x80,0x80,0x00,0xff,0xff,0x7f]

buffer_atomic_min_num_f32 v5, v0, s[8:11], s3 offen offset:8388607
// GFX13: buffer_atomic_min_num_f32 v5, v0, s[8:11], s3 offen offset:8388607 ; encoding: [0x03,0xc0,0x0f,0xc4,0x05,0x10,0x80,0x40,0x00,0xff,0xff,0x7f]

buffer_atomic_min_num_f32 v5, off, s[8:11], s3
// GFX13: buffer_atomic_min_num_f32 v5, off, s[8:11], s3 ; encoding: [0x03,0xc0,0x0f,0xc4,0x05,0x10,0x80,0x00,0x00,0x00,0x00,0x00]

buffer_atomic_min_num_f32 v5, off, s[8:11], s3 offset:0
// GFX13: buffer_atomic_min_num_f32 v5, off, s[8:11], s3 ; encoding: [0x03,0xc0,0x0f,0xc4,0x05,0x10,0x80,0x00,0x00,0x00,0x00,0x00]

buffer_atomic_min_num_f32 v5, off, s[8:11], s3 offset:7
// GFX13: buffer_atomic_min_num_f32 v5, off, s[8:11], s3 offset:7 ; encoding: [0x03,0xc0,0x0f,0xc4,0x05,0x10,0x80,0x00,0x00,0x07,0x00,0x00]

buffer_atomic_min_num_f32 v5, off, s[8:11], s3 offset:8388607 th:TH_ATOMIC_RETURN
// GFX13: buffer_atomic_min_num_f32 v5, off, s[8:11], s3 offset:8388607 th:TH_ATOMIC_RETURN ; encoding: [0x03,0xc0,0x0f,0xc4,0x05,0x10,0x90,0x00,0x00,0xff,0xff,0x7f]

buffer_atomic_min_num_f32 v5, off, s[8:11], s3 offset:8388607 th:TH_ATOMIC_RT_RETURN scope:SCOPE_SE
// GFX13: buffer_atomic_min_num_f32 v5, off, s[8:11], s3 offset:8388607 th:TH_ATOMIC_RETURN scope:SCOPE_SE ; encoding: [0x03,0xc0,0x0f,0xc4,0x05,0x10,0x94,0x00,0x00,0xff,0xff,0x7f]

buffer_atomic_min_num_f32 v5, off, s[8:11], s3 offset:8388607 th:TH_ATOMIC_CASCADE_NT scope:SCOPE_DEV
// GFX13: buffer_atomic_min_num_f32 v5, off, s[8:11], s3 offset:8388607 th:TH_ATOMIC_CASCADE_NT scope:SCOPE_DEV ; encoding: [0x03,0xc0,0x0f,0xc4,0x05,0x10,0xe8,0x00,0x00,0xff,0xff,0x7f]

buffer_atomic_min_num_f64 v[5:6], off, s[8:11], s3 offset:8388607
// GFX1250-ERR: :[[@LINE-1]]:27: error: invalid operand for instruction
// GFX13: buffer_atomic_min_num_f64 v[5:6], off, s[8:11], s3 offset:8388607 ; encoding: [0x03,0xc0,0x17,0xc4,0x05,0x10,0x80,0x00,0x00,0xff,0xff,0x7f]

buffer_atomic_min_num_f64 v[254:255], off, s[8:11], s3 offset:8388607
// GFX13: buffer_atomic_min_num_f64 v[254:255], off, s[8:11], s3 offset:8388607 ; encoding: [0x03,0xc0,0x17,0xc4,0xfe,0x10,0x80,0x00,0x00,0xff,0xff,0x7f]

buffer_atomic_min_num_f64 v[5:6], off, s[12:15], s3 offset:8388607
// GFX1250-ERR: :[[@LINE-1]]:27: error: invalid operand for instruction
// GFX13: buffer_atomic_min_num_f64 v[5:6], off, s[12:15], s3 offset:8388607 ; encoding: [0x03,0xc0,0x17,0xc4,0x05,0x18,0x80,0x00,0x00,0xff,0xff,0x7f]

buffer_atomic_min_num_f64 v[5:6], off, s[96:99], s3 offset:8388607
// GFX1250-ERR: :[[@LINE-1]]:27: error: invalid operand for instruction
	;; [unrolled: 4-line block ×4, first 2 shown]
// GFX13: buffer_atomic_min_num_f64 v[5:6], off, s[8:11], m0 offset:8388607 ; encoding: [0x7d,0xc0,0x17,0xc4,0x05,0x10,0x80,0x00,0x00,0xff,0xff,0x7f]

buffer_atomic_min_num_f64 v[5:6], v0, s[8:11], s3 idxen offset:8388607
// GFX1250-ERR: :[[@LINE-1]]:27: error: invalid operand for instruction
// GFX13: buffer_atomic_min_num_f64 v[5:6], v0, s[8:11], s3 idxen offset:8388607 ; encoding: [0x03,0xc0,0x17,0xc4,0x05,0x10,0x80,0x80,0x00,0xff,0xff,0x7f]

buffer_atomic_min_num_f64 v[5:6], v0, s[8:11], s3 offen offset:8388607
// GFX1250-ERR: :[[@LINE-1]]:27: error: invalid operand for instruction
// GFX13: buffer_atomic_min_num_f64 v[5:6], v0, s[8:11], s3 offen offset:8388607 ; encoding: [0x03,0xc0,0x17,0xc4,0x05,0x10,0x80,0x40,0x00,0xff,0xff,0x7f]

buffer_atomic_min_num_f64 v[5:6], off, s[8:11], s3
// GFX1250-ERR: :[[@LINE-1]]:27: error: invalid operand for instruction
// GFX13: buffer_atomic_min_num_f64 v[5:6], off, s[8:11], s3 ; encoding: [0x03,0xc0,0x17,0xc4,0x05,0x10,0x80,0x00,0x00,0x00,0x00,0x00]

buffer_atomic_min_num_f64 v[5:6], off, s[8:11], s3 offset:0
// GFX1250-ERR: :[[@LINE-1]]:27: error: invalid operand for instruction
// GFX13: buffer_atomic_min_num_f64 v[5:6], off, s[8:11], s3 ; encoding: [0x03,0xc0,0x17,0xc4,0x05,0x10,0x80,0x00,0x00,0x00,0x00,0x00]

buffer_atomic_min_num_f64 v[5:6], off, s[8:11], s3 offset:7
// GFX1250-ERR: :[[@LINE-1]]:27: error: invalid operand for instruction
// GFX13: buffer_atomic_min_num_f64 v[5:6], off, s[8:11], s3 offset:7 ; encoding: [0x03,0xc0,0x17,0xc4,0x05,0x10,0x80,0x00,0x00,0x07,0x00,0x00]

buffer_atomic_min_num_f64 v[5:6], off, s[8:11], s3 offset:8388607 th:TH_ATOMIC_RETURN
// GFX1250-ERR: :[[@LINE-1]]:27: error: invalid operand for instruction
// GFX13: buffer_atomic_min_num_f64 v[5:6], off, s[8:11], s3 offset:8388607 th:TH_ATOMIC_RETURN ; encoding: [0x03,0xc0,0x17,0xc4,0x05,0x10,0x90,0x00,0x00,0xff,0xff,0x7f]

buffer_atomic_min_num_f64 v[5:6], off, s[8:11], s3 offset:8388607 th:TH_ATOMIC_RT_RETURN scope:SCOPE_SE
// GFX1250-ERR: :[[@LINE-1]]:27: error: invalid operand for instruction
// GFX13: buffer_atomic_min_num_f64 v[5:6], off, s[8:11], s3 offset:8388607 th:TH_ATOMIC_RETURN scope:SCOPE_SE ; encoding: [0x03,0xc0,0x17,0xc4,0x05,0x10,0x94,0x00,0x00,0xff,0xff,0x7f]

buffer_atomic_min_num_f64 v[5:6], off, s[8:11], s3 offset:8388607 th:TH_ATOMIC_CASCADE_NT scope:SCOPE_DEV
// GFX1250-ERR: :[[@LINE-1]]:27: error: invalid operand for instruction
// GFX13: buffer_atomic_min_num_f64 v[5:6], off, s[8:11], s3 offset:8388607 th:TH_ATOMIC_CASCADE_NT scope:SCOPE_DEV ; encoding: [0x03,0xc0,0x17,0xc4,0x05,0x10,0xe8,0x00,0x00,0xff,0xff,0x7f]

buffer_atomic_min_i32 v5, off, s[8:11], s3 offset:8388607
// GFX13: buffer_atomic_min_i32 v5, off, s[8:11], s3 offset:8388607 ; encoding: [0x03,0x40,0x0d,0xc4,0x05,0x10,0x80,0x00,0x00,0xff,0xff,0x7f]

buffer_atomic_min_i32 v255, off, s[8:11], s3 offset:8388607
// GFX13: buffer_atomic_min_i32 v255, off, s[8:11], s3 offset:8388607 ; encoding: [0x03,0x40,0x0d,0xc4,0xff,0x10,0x80,0x00,0x00,0xff,0xff,0x7f]
	;; [unrolled: 3-line block ×6, first 2 shown]

buffer_atomic_min_i32 v5, v0, s[8:11], s3 idxen offset:8388607
// GFX13: buffer_atomic_min_i32 v5, v0, s[8:11], s3 idxen offset:8388607 ; encoding: [0x03,0x40,0x0d,0xc4,0x05,0x10,0x80,0x80,0x00,0xff,0xff,0x7f]

buffer_atomic_min_i32 v5, v0, s[8:11], s3 offen offset:8388607
// GFX13: buffer_atomic_min_i32 v5, v0, s[8:11], s3 offen offset:8388607 ; encoding: [0x03,0x40,0x0d,0xc4,0x05,0x10,0x80,0x40,0x00,0xff,0xff,0x7f]

buffer_atomic_min_i32 v5, off, s[8:11], s3
// GFX13: buffer_atomic_min_i32 v5, off, s[8:11], s3 ; encoding: [0x03,0x40,0x0d,0xc4,0x05,0x10,0x80,0x00,0x00,0x00,0x00,0x00]

buffer_atomic_min_i32 v5, off, s[8:11], s3 offset:0
// GFX13: buffer_atomic_min_i32 v5, off, s[8:11], s3 ; encoding: [0x03,0x40,0x0d,0xc4,0x05,0x10,0x80,0x00,0x00,0x00,0x00,0x00]

buffer_atomic_min_i32 v5, off, s[8:11], s3 offset:7
// GFX13: buffer_atomic_min_i32 v5, off, s[8:11], s3 offset:7 ; encoding: [0x03,0x40,0x0d,0xc4,0x05,0x10,0x80,0x00,0x00,0x07,0x00,0x00]

buffer_atomic_min_i32 v5, off, s[8:11], s3 offset:8388607 th:TH_ATOMIC_RETURN
// GFX13: buffer_atomic_min_i32 v5, off, s[8:11], s3 offset:8388607 th:TH_ATOMIC_RETURN ; encoding: [0x03,0x40,0x0d,0xc4,0x05,0x10,0x90,0x00,0x00,0xff,0xff,0x7f]

buffer_atomic_min_i32 v5, off, s[8:11], s3 offset:8388607 th:TH_ATOMIC_RT_RETURN scope:SCOPE_SE
// GFX13: buffer_atomic_min_i32 v5, off, s[8:11], s3 offset:8388607 th:TH_ATOMIC_RETURN scope:SCOPE_SE ; encoding: [0x03,0x40,0x0d,0xc4,0x05,0x10,0x94,0x00,0x00,0xff,0xff,0x7f]

buffer_atomic_min_i32 v5, off, s[8:11], s3 offset:8388607 th:TH_ATOMIC_CASCADE_NT scope:SCOPE_DEV
// GFX13: buffer_atomic_min_i32 v5, off, s[8:11], s3 offset:8388607 th:TH_ATOMIC_CASCADE_NT scope:SCOPE_DEV ; encoding: [0x03,0x40,0x0d,0xc4,0x05,0x10,0xe8,0x00,0x00,0xff,0xff,0x7f]

buffer_atomic_min_i64 v[5:6], off, s[8:11], s3 offset:8388607
// GFX1250-ERR: :[[@LINE-1]]:23: error: invalid operand for instruction
// GFX13: buffer_atomic_min_i64 v[5:6], off, s[8:11], s3 offset:8388607 ; encoding: [0x03,0x40,0x15,0xc4,0x05,0x10,0x80,0x00,0x00,0xff,0xff,0x7f]

buffer_atomic_min_i64 v[254:255], off, s[8:11], s3 offset:8388607
// GFX13: buffer_atomic_min_i64 v[254:255], off, s[8:11], s3 offset:8388607 ; encoding: [0x03,0x40,0x15,0xc4,0xfe,0x10,0x80,0x00,0x00,0xff,0xff,0x7f]

buffer_atomic_min_i64 v[5:6], off, s[12:15], s3 offset:8388607
// GFX1250-ERR: :[[@LINE-1]]:23: error: invalid operand for instruction
// GFX13: buffer_atomic_min_i64 v[5:6], off, s[12:15], s3 offset:8388607 ; encoding: [0x03,0x40,0x15,0xc4,0x05,0x18,0x80,0x00,0x00,0xff,0xff,0x7f]

buffer_atomic_min_i64 v[5:6], off, s[96:99], s3 offset:8388607
// GFX1250-ERR: :[[@LINE-1]]:23: error: invalid operand for instruction
	;; [unrolled: 4-line block ×4, first 2 shown]
// GFX13: buffer_atomic_min_i64 v[5:6], off, s[8:11], m0 offset:8388607 ; encoding: [0x7d,0x40,0x15,0xc4,0x05,0x10,0x80,0x00,0x00,0xff,0xff,0x7f]

buffer_atomic_min_i64 v[5:6], v0, s[8:11], s3 idxen offset:8388607
// GFX1250-ERR: :[[@LINE-1]]:23: error: invalid operand for instruction
// GFX13: buffer_atomic_min_i64 v[5:6], v0, s[8:11], s3 idxen offset:8388607 ; encoding: [0x03,0x40,0x15,0xc4,0x05,0x10,0x80,0x80,0x00,0xff,0xff,0x7f]

buffer_atomic_min_i64 v[5:6], v0, s[8:11], s3 offen offset:8388607
// GFX1250-ERR: :[[@LINE-1]]:23: error: invalid operand for instruction
// GFX13: buffer_atomic_min_i64 v[5:6], v0, s[8:11], s3 offen offset:8388607 ; encoding: [0x03,0x40,0x15,0xc4,0x05,0x10,0x80,0x40,0x00,0xff,0xff,0x7f]

buffer_atomic_min_i64 v[5:6], off, s[8:11], s3
// GFX1250-ERR: :[[@LINE-1]]:23: error: invalid operand for instruction
// GFX13: buffer_atomic_min_i64 v[5:6], off, s[8:11], s3 ; encoding: [0x03,0x40,0x15,0xc4,0x05,0x10,0x80,0x00,0x00,0x00,0x00,0x00]

buffer_atomic_min_i64 v[5:6], off, s[8:11], s3 offset:0
// GFX1250-ERR: :[[@LINE-1]]:23: error: invalid operand for instruction
// GFX13: buffer_atomic_min_i64 v[5:6], off, s[8:11], s3 ; encoding: [0x03,0x40,0x15,0xc4,0x05,0x10,0x80,0x00,0x00,0x00,0x00,0x00]

buffer_atomic_min_i64 v[5:6], off, s[8:11], s3 offset:7
// GFX1250-ERR: :[[@LINE-1]]:23: error: invalid operand for instruction
// GFX13: buffer_atomic_min_i64 v[5:6], off, s[8:11], s3 offset:7 ; encoding: [0x03,0x40,0x15,0xc4,0x05,0x10,0x80,0x00,0x00,0x07,0x00,0x00]

buffer_atomic_min_i64 v[5:6], off, s[8:11], s3 offset:8388607 th:TH_ATOMIC_RETURN
// GFX1250-ERR: :[[@LINE-1]]:23: error: invalid operand for instruction
// GFX13: buffer_atomic_min_i64 v[5:6], off, s[8:11], s3 offset:8388607 th:TH_ATOMIC_RETURN ; encoding: [0x03,0x40,0x15,0xc4,0x05,0x10,0x90,0x00,0x00,0xff,0xff,0x7f]

buffer_atomic_min_i64 v[5:6], off, s[8:11], s3 offset:8388607 th:TH_ATOMIC_RT_RETURN scope:SCOPE_SE
// GFX1250-ERR: :[[@LINE-1]]:23: error: invalid operand for instruction
// GFX13: buffer_atomic_min_i64 v[5:6], off, s[8:11], s3 offset:8388607 th:TH_ATOMIC_RETURN scope:SCOPE_SE ; encoding: [0x03,0x40,0x15,0xc4,0x05,0x10,0x94,0x00,0x00,0xff,0xff,0x7f]

buffer_atomic_min_i64 v[5:6], off, s[8:11], s3 offset:8388607 th:TH_ATOMIC_CASCADE_NT scope:SCOPE_DEV
// GFX1250-ERR: :[[@LINE-1]]:23: error: invalid operand for instruction
// GFX13: buffer_atomic_min_i64 v[5:6], off, s[8:11], s3 offset:8388607 th:TH_ATOMIC_CASCADE_NT scope:SCOPE_DEV ; encoding: [0x03,0x40,0x15,0xc4,0x05,0x10,0xe8,0x00,0x00,0xff,0xff,0x7f]

buffer_atomic_min_u32 v5, off, s[8:11], s3 offset:8388607
// GFX13: buffer_atomic_min_u32 v5, off, s[8:11], s3 offset:8388607 ; encoding: [0x03,0x80,0x0d,0xc4,0x05,0x10,0x80,0x00,0x00,0xff,0xff,0x7f]

buffer_atomic_min_u32 v255, off, s[8:11], s3 offset:8388607
// GFX13: buffer_atomic_min_u32 v255, off, s[8:11], s3 offset:8388607 ; encoding: [0x03,0x80,0x0d,0xc4,0xff,0x10,0x80,0x00,0x00,0xff,0xff,0x7f]
	;; [unrolled: 3-line block ×6, first 2 shown]

buffer_atomic_min_u32 v5, v0, s[8:11], s3 idxen offset:8388607
// GFX13: buffer_atomic_min_u32 v5, v0, s[8:11], s3 idxen offset:8388607 ; encoding: [0x03,0x80,0x0d,0xc4,0x05,0x10,0x80,0x80,0x00,0xff,0xff,0x7f]

buffer_atomic_min_u32 v5, v0, s[8:11], s3 offen offset:8388607
// GFX13: buffer_atomic_min_u32 v5, v0, s[8:11], s3 offen offset:8388607 ; encoding: [0x03,0x80,0x0d,0xc4,0x05,0x10,0x80,0x40,0x00,0xff,0xff,0x7f]

buffer_atomic_min_u32 v5, off, s[8:11], s3
// GFX13: buffer_atomic_min_u32 v5, off, s[8:11], s3 ; encoding: [0x03,0x80,0x0d,0xc4,0x05,0x10,0x80,0x00,0x00,0x00,0x00,0x00]

buffer_atomic_min_u32 v5, off, s[8:11], s3 offset:0
// GFX13: buffer_atomic_min_u32 v5, off, s[8:11], s3 ; encoding: [0x03,0x80,0x0d,0xc4,0x05,0x10,0x80,0x00,0x00,0x00,0x00,0x00]

buffer_atomic_min_u32 v5, off, s[8:11], s3 offset:7
// GFX13: buffer_atomic_min_u32 v5, off, s[8:11], s3 offset:7 ; encoding: [0x03,0x80,0x0d,0xc4,0x05,0x10,0x80,0x00,0x00,0x07,0x00,0x00]

buffer_atomic_min_u32 v5, off, s[8:11], s3 offset:8388607 th:TH_ATOMIC_RETURN
// GFX13: buffer_atomic_min_u32 v5, off, s[8:11], s3 offset:8388607 th:TH_ATOMIC_RETURN ; encoding: [0x03,0x80,0x0d,0xc4,0x05,0x10,0x90,0x00,0x00,0xff,0xff,0x7f]

buffer_atomic_min_u32 v5, off, s[8:11], s3 offset:8388607 th:TH_ATOMIC_RT_RETURN scope:SCOPE_SE
// GFX13: buffer_atomic_min_u32 v5, off, s[8:11], s3 offset:8388607 th:TH_ATOMIC_RETURN scope:SCOPE_SE ; encoding: [0x03,0x80,0x0d,0xc4,0x05,0x10,0x94,0x00,0x00,0xff,0xff,0x7f]

buffer_atomic_min_u32 v5, off, s[8:11], s3 offset:8388607 th:TH_ATOMIC_CASCADE_NT scope:SCOPE_DEV
// GFX13: buffer_atomic_min_u32 v5, off, s[8:11], s3 offset:8388607 th:TH_ATOMIC_CASCADE_NT scope:SCOPE_DEV ; encoding: [0x03,0x80,0x0d,0xc4,0x05,0x10,0xe8,0x00,0x00,0xff,0xff,0x7f]

buffer_atomic_min_u64 v[5:6], off, s[8:11], s3 offset:8388607
// GFX1250-ERR: :[[@LINE-1]]:23: error: invalid operand for instruction
// GFX13: buffer_atomic_min_u64 v[5:6], off, s[8:11], s3 offset:8388607 ; encoding: [0x03,0x80,0x15,0xc4,0x05,0x10,0x80,0x00,0x00,0xff,0xff,0x7f]

buffer_atomic_min_u64 v[254:255], off, s[8:11], s3 offset:8388607
// GFX13: buffer_atomic_min_u64 v[254:255], off, s[8:11], s3 offset:8388607 ; encoding: [0x03,0x80,0x15,0xc4,0xfe,0x10,0x80,0x00,0x00,0xff,0xff,0x7f]

buffer_atomic_min_u64 v[5:6], off, s[12:15], s3 offset:8388607
// GFX1250-ERR: :[[@LINE-1]]:23: error: invalid operand for instruction
// GFX13: buffer_atomic_min_u64 v[5:6], off, s[12:15], s3 offset:8388607 ; encoding: [0x03,0x80,0x15,0xc4,0x05,0x18,0x80,0x00,0x00,0xff,0xff,0x7f]

buffer_atomic_min_u64 v[5:6], off, s[96:99], s3 offset:8388607
// GFX1250-ERR: :[[@LINE-1]]:23: error: invalid operand for instruction
	;; [unrolled: 4-line block ×4, first 2 shown]
// GFX13: buffer_atomic_min_u64 v[5:6], off, s[8:11], m0 offset:8388607 ; encoding: [0x7d,0x80,0x15,0xc4,0x05,0x10,0x80,0x00,0x00,0xff,0xff,0x7f]

buffer_atomic_min_u64 v[5:6], v0, s[8:11], s3 idxen offset:8388607
// GFX1250-ERR: :[[@LINE-1]]:23: error: invalid operand for instruction
// GFX13: buffer_atomic_min_u64 v[5:6], v0, s[8:11], s3 idxen offset:8388607 ; encoding: [0x03,0x80,0x15,0xc4,0x05,0x10,0x80,0x80,0x00,0xff,0xff,0x7f]

buffer_atomic_min_u64 v[5:6], v0, s[8:11], s3 offen offset:8388607
// GFX1250-ERR: :[[@LINE-1]]:23: error: invalid operand for instruction
// GFX13: buffer_atomic_min_u64 v[5:6], v0, s[8:11], s3 offen offset:8388607 ; encoding: [0x03,0x80,0x15,0xc4,0x05,0x10,0x80,0x40,0x00,0xff,0xff,0x7f]

buffer_atomic_min_u64 v[5:6], off, s[8:11], s3
// GFX1250-ERR: :[[@LINE-1]]:23: error: invalid operand for instruction
// GFX13: buffer_atomic_min_u64 v[5:6], off, s[8:11], s3 ; encoding: [0x03,0x80,0x15,0xc4,0x05,0x10,0x80,0x00,0x00,0x00,0x00,0x00]

buffer_atomic_min_u64 v[5:6], off, s[8:11], s3 offset:0
// GFX1250-ERR: :[[@LINE-1]]:23: error: invalid operand for instruction
// GFX13: buffer_atomic_min_u64 v[5:6], off, s[8:11], s3 ; encoding: [0x03,0x80,0x15,0xc4,0x05,0x10,0x80,0x00,0x00,0x00,0x00,0x00]

buffer_atomic_min_u64 v[5:6], off, s[8:11], s3 offset:7
// GFX1250-ERR: :[[@LINE-1]]:23: error: invalid operand for instruction
// GFX13: buffer_atomic_min_u64 v[5:6], off, s[8:11], s3 offset:7 ; encoding: [0x03,0x80,0x15,0xc4,0x05,0x10,0x80,0x00,0x00,0x07,0x00,0x00]

buffer_atomic_min_u64 v[5:6], off, s[8:11], s3 offset:8388607 th:TH_ATOMIC_RETURN
// GFX1250-ERR: :[[@LINE-1]]:23: error: invalid operand for instruction
// GFX13: buffer_atomic_min_u64 v[5:6], off, s[8:11], s3 offset:8388607 th:TH_ATOMIC_RETURN ; encoding: [0x03,0x80,0x15,0xc4,0x05,0x10,0x90,0x00,0x00,0xff,0xff,0x7f]

buffer_atomic_min_u64 v[5:6], off, s[8:11], s3 offset:8388607 th:TH_ATOMIC_RT_RETURN scope:SCOPE_SE
// GFX1250-ERR: :[[@LINE-1]]:23: error: invalid operand for instruction
// GFX13: buffer_atomic_min_u64 v[5:6], off, s[8:11], s3 offset:8388607 th:TH_ATOMIC_RETURN scope:SCOPE_SE ; encoding: [0x03,0x80,0x15,0xc4,0x05,0x10,0x94,0x00,0x00,0xff,0xff,0x7f]

buffer_atomic_min_u64 v[5:6], off, s[8:11], s3 offset:8388607 th:TH_ATOMIC_CASCADE_NT scope:SCOPE_DEV
// GFX1250-ERR: :[[@LINE-1]]:23: error: invalid operand for instruction
// GFX13: buffer_atomic_min_u64 v[5:6], off, s[8:11], s3 offset:8388607 th:TH_ATOMIC_CASCADE_NT scope:SCOPE_DEV ; encoding: [0x03,0x80,0x15,0xc4,0x05,0x10,0xe8,0x00,0x00,0xff,0xff,0x7f]

buffer_atomic_or_b32 v5, off, s[8:11], s3 offset:8388607
// GFX13: buffer_atomic_or_b32 v5, off, s[8:11], s3 offset:8388607 ; encoding: [0x03,0x80,0x0e,0xc4,0x05,0x10,0x80,0x00,0x00,0xff,0xff,0x7f]

buffer_atomic_or_b32 v255, off, s[8:11], s3 offset:8388607
// GFX13: buffer_atomic_or_b32 v255, off, s[8:11], s3 offset:8388607 ; encoding: [0x03,0x80,0x0e,0xc4,0xff,0x10,0x80,0x00,0x00,0xff,0xff,0x7f]
	;; [unrolled: 3-line block ×6, first 2 shown]

buffer_atomic_or_b32 v5, v0, s[8:11], s3 idxen offset:8388607
// GFX13: buffer_atomic_or_b32 v5, v0, s[8:11], s3 idxen offset:8388607 ; encoding: [0x03,0x80,0x0e,0xc4,0x05,0x10,0x80,0x80,0x00,0xff,0xff,0x7f]

buffer_atomic_or_b32 v5, v0, s[8:11], s3 offen offset:8388607
// GFX13: buffer_atomic_or_b32 v5, v0, s[8:11], s3 offen offset:8388607 ; encoding: [0x03,0x80,0x0e,0xc4,0x05,0x10,0x80,0x40,0x00,0xff,0xff,0x7f]

buffer_atomic_or_b32 v5, off, s[8:11], s3
// GFX13: buffer_atomic_or_b32 v5, off, s[8:11], s3 ; encoding: [0x03,0x80,0x0e,0xc4,0x05,0x10,0x80,0x00,0x00,0x00,0x00,0x00]

buffer_atomic_or_b32 v5, off, s[8:11], s3 offset:0
// GFX13: buffer_atomic_or_b32 v5, off, s[8:11], s3 ; encoding: [0x03,0x80,0x0e,0xc4,0x05,0x10,0x80,0x00,0x00,0x00,0x00,0x00]

buffer_atomic_or_b32 v5, off, s[8:11], s3 offset:7
// GFX13: buffer_atomic_or_b32 v5, off, s[8:11], s3 offset:7 ; encoding: [0x03,0x80,0x0e,0xc4,0x05,0x10,0x80,0x00,0x00,0x07,0x00,0x00]

buffer_atomic_or_b32 v5, off, s[8:11], s3 offset:8388607 th:TH_ATOMIC_RETURN
// GFX13: buffer_atomic_or_b32 v5, off, s[8:11], s3 offset:8388607 th:TH_ATOMIC_RETURN ; encoding: [0x03,0x80,0x0e,0xc4,0x05,0x10,0x90,0x00,0x00,0xff,0xff,0x7f]

buffer_atomic_or_b32 v5, off, s[8:11], s3 offset:8388607 th:TH_ATOMIC_RT_RETURN scope:SCOPE_SE
// GFX13: buffer_atomic_or_b32 v5, off, s[8:11], s3 offset:8388607 th:TH_ATOMIC_RETURN scope:SCOPE_SE ; encoding: [0x03,0x80,0x0e,0xc4,0x05,0x10,0x94,0x00,0x00,0xff,0xff,0x7f]

buffer_atomic_or_b64 v[5:6], off, s[8:11], s3 offset:8388607
// GFX1250-ERR: :[[@LINE-1]]:22: error: invalid operand for instruction
// GFX13: buffer_atomic_or_b64 v[5:6], off, s[8:11], s3 offset:8388607 ; encoding: [0x03,0x80,0x16,0xc4,0x05,0x10,0x80,0x00,0x00,0xff,0xff,0x7f]

buffer_atomic_or_b64 v[254:255], off, s[8:11], s3 offset:8388607
// GFX13: buffer_atomic_or_b64 v[254:255], off, s[8:11], s3 offset:8388607 ; encoding: [0x03,0x80,0x16,0xc4,0xfe,0x10,0x80,0x00,0x00,0xff,0xff,0x7f]

buffer_atomic_or_b64 v[5:6], off, s[12:15], s3 offset:8388607
// GFX1250-ERR: :[[@LINE-1]]:22: error: invalid operand for instruction
// GFX13: buffer_atomic_or_b64 v[5:6], off, s[12:15], s3 offset:8388607 ; encoding: [0x03,0x80,0x16,0xc4,0x05,0x18,0x80,0x00,0x00,0xff,0xff,0x7f]

buffer_atomic_or_b64 v[5:6], off, s[96:99], s3 offset:8388607
// GFX1250-ERR: :[[@LINE-1]]:22: error: invalid operand for instruction
// GFX13: buffer_atomic_or_b64 v[5:6], off, s[96:99], s3 offset:8388607 ; encoding: [0x03,0x80,0x16,0xc4,0x05,0xc0,0x80,0x00,0x00,0xff,0xff,0x7f]

buffer_atomic_or_b64 v[5:6], off, s[8:11], s101 offset:8388607
// GFX1250-ERR: :[[@LINE-1]]:22: error: invalid operand for instruction
// GFX13: buffer_atomic_or_b64 v[5:6], off, s[8:11], s101 offset:8388607 ; encoding: [0x65,0x80,0x16,0xc4,0x05,0x10,0x80,0x00,0x00,0xff,0xff,0x7f]

buffer_atomic_or_b64 v[5:6], off, s[8:11], m0 offset:8388607
// GFX1250-ERR: :[[@LINE-1]]:22: error: invalid operand for instruction
// GFX13: buffer_atomic_or_b64 v[5:6], off, s[8:11], m0 offset:8388607 ; encoding: [0x7d,0x80,0x16,0xc4,0x05,0x10,0x80,0x00,0x00,0xff,0xff,0x7f]

buffer_atomic_or_b64 v[5:6], v0, s[8:11], s3 idxen offset:8388607
// GFX1250-ERR: :[[@LINE-1]]:22: error: invalid operand for instruction
// GFX13: buffer_atomic_or_b64 v[5:6], v0, s[8:11], s3 idxen offset:8388607 ; encoding: [0x03,0x80,0x16,0xc4,0x05,0x10,0x80,0x80,0x00,0xff,0xff,0x7f]

buffer_atomic_or_b64 v[5:6], v0, s[8:11], s3 offen offset:8388607
// GFX1250-ERR: :[[@LINE-1]]:22: error: invalid operand for instruction
// GFX13: buffer_atomic_or_b64 v[5:6], v0, s[8:11], s3 offen offset:8388607 ; encoding: [0x03,0x80,0x16,0xc4,0x05,0x10,0x80,0x40,0x00,0xff,0xff,0x7f]

buffer_atomic_or_b64 v[5:6], off, s[8:11], s3
// GFX1250-ERR: :[[@LINE-1]]:22: error: invalid operand for instruction
// GFX13: buffer_atomic_or_b64 v[5:6], off, s[8:11], s3 ; encoding: [0x03,0x80,0x16,0xc4,0x05,0x10,0x80,0x00,0x00,0x00,0x00,0x00]

buffer_atomic_or_b64 v[5:6], off, s[8:11], s3 offset:0
// GFX1250-ERR: :[[@LINE-1]]:22: error: invalid operand for instruction
// GFX13: buffer_atomic_or_b64 v[5:6], off, s[8:11], s3 ; encoding: [0x03,0x80,0x16,0xc4,0x05,0x10,0x80,0x00,0x00,0x00,0x00,0x00]

buffer_atomic_or_b64 v[5:6], off, s[8:11], s3 offset:7
// GFX1250-ERR: :[[@LINE-1]]:22: error: invalid operand for instruction
// GFX13: buffer_atomic_or_b64 v[5:6], off, s[8:11], s3 offset:7 ; encoding: [0x03,0x80,0x16,0xc4,0x05,0x10,0x80,0x00,0x00,0x07,0x00,0x00]

buffer_atomic_or_b64 v[5:6], off, s[8:11], s3 offset:8388607 th:TH_ATOMIC_RETURN
// GFX1250-ERR: :[[@LINE-1]]:22: error: invalid operand for instruction
// GFX13: buffer_atomic_or_b64 v[5:6], off, s[8:11], s3 offset:8388607 th:TH_ATOMIC_RETURN ; encoding: [0x03,0x80,0x16,0xc4,0x05,0x10,0x90,0x00,0x00,0xff,0xff,0x7f]

buffer_atomic_or_b64 v[5:6], off, s[8:11], s3 offset:8388607 th:TH_ATOMIC_RT_RETURN scope:SCOPE_SE
// GFX1250-ERR: :[[@LINE-1]]:22: error: invalid operand for instruction
// GFX13: buffer_atomic_or_b64 v[5:6], off, s[8:11], s3 offset:8388607 th:TH_ATOMIC_RETURN scope:SCOPE_SE ; encoding: [0x03,0x80,0x16,0xc4,0x05,0x10,0x94,0x00,0x00,0xff,0xff,0x7f]

buffer_atomic_or_b64 v[5:6], off, s[8:11], s3 offset:8388607 th:TH_ATOMIC_CASCADE_NT scope:SCOPE_DEV
// GFX1250-ERR: :[[@LINE-1]]:22: error: invalid operand for instruction
// GFX13: buffer_atomic_or_b64 v[5:6], off, s[8:11], s3 offset:8388607 th:TH_ATOMIC_CASCADE_NT scope:SCOPE_DEV ; encoding: [0x03,0x80,0x16,0xc4,0x05,0x10,0xe8,0x00,0x00,0xff,0xff,0x7f]

buffer_atomic_sub_u32 v5, off, s[8:11], s3 offset:8388607
// GFX13: buffer_atomic_sub_u32 v5, off, s[8:11], s3 offset:8388607 ; encoding: [0x03,0xc0,0x0c,0xc4,0x05,0x10,0x80,0x00,0x00,0xff,0xff,0x7f]

buffer_atomic_sub_u32 v255, off, s[8:11], s3 offset:8388607
// GFX13: buffer_atomic_sub_u32 v255, off, s[8:11], s3 offset:8388607 ; encoding: [0x03,0xc0,0x0c,0xc4,0xff,0x10,0x80,0x00,0x00,0xff,0xff,0x7f]
	;; [unrolled: 3-line block ×6, first 2 shown]

buffer_atomic_sub_u32 v5, v0, s[8:11], s3 idxen offset:8388607
// GFX13: buffer_atomic_sub_u32 v5, v0, s[8:11], s3 idxen offset:8388607 ; encoding: [0x03,0xc0,0x0c,0xc4,0x05,0x10,0x80,0x80,0x00,0xff,0xff,0x7f]

buffer_atomic_sub_u32 v5, v0, s[8:11], s3 offen offset:8388607
// GFX13: buffer_atomic_sub_u32 v5, v0, s[8:11], s3 offen offset:8388607 ; encoding: [0x03,0xc0,0x0c,0xc4,0x05,0x10,0x80,0x40,0x00,0xff,0xff,0x7f]

buffer_atomic_sub_u32 v5, off, s[8:11], s3
// GFX13: buffer_atomic_sub_u32 v5, off, s[8:11], s3 ; encoding: [0x03,0xc0,0x0c,0xc4,0x05,0x10,0x80,0x00,0x00,0x00,0x00,0x00]

buffer_atomic_sub_u32 v5, off, s[8:11], s3 offset:0
// GFX13: buffer_atomic_sub_u32 v5, off, s[8:11], s3 ; encoding: [0x03,0xc0,0x0c,0xc4,0x05,0x10,0x80,0x00,0x00,0x00,0x00,0x00]

buffer_atomic_sub_u32 v5, off, s[8:11], s3 offset:7
// GFX13: buffer_atomic_sub_u32 v5, off, s[8:11], s3 offset:7 ; encoding: [0x03,0xc0,0x0c,0xc4,0x05,0x10,0x80,0x00,0x00,0x07,0x00,0x00]

buffer_atomic_sub_u32 v5, off, s[8:11], s3 offset:8388607 th:TH_ATOMIC_RETURN
// GFX13: buffer_atomic_sub_u32 v5, off, s[8:11], s3 offset:8388607 th:TH_ATOMIC_RETURN ; encoding: [0x03,0xc0,0x0c,0xc4,0x05,0x10,0x90,0x00,0x00,0xff,0xff,0x7f]

buffer_atomic_sub_u32 v5, off, s[8:11], s3 offset:8388607 th:TH_ATOMIC_RT_RETURN scope:SCOPE_SE
// GFX13: buffer_atomic_sub_u32 v5, off, s[8:11], s3 offset:8388607 th:TH_ATOMIC_RETURN scope:SCOPE_SE ; encoding: [0x03,0xc0,0x0c,0xc4,0x05,0x10,0x94,0x00,0x00,0xff,0xff,0x7f]

buffer_atomic_sub_u32 v5, off, s[8:11], s3 offset:8388607 th:TH_ATOMIC_CASCADE_NT scope:SCOPE_DEV
// GFX13: buffer_atomic_sub_u32 v5, off, s[8:11], s3 offset:8388607 th:TH_ATOMIC_CASCADE_NT scope:SCOPE_DEV ; encoding: [0x03,0xc0,0x0c,0xc4,0x05,0x10,0xe8,0x00,0x00,0xff,0xff,0x7f]

buffer_atomic_sub_u64 v[5:6], off, s[8:11], s3 offset:8388607
// GFX1250-ERR: :[[@LINE-1]]:23: error: invalid operand for instruction
// GFX13: buffer_atomic_sub_u64 v[5:6], off, s[8:11], s3 offset:8388607 ; encoding: [0x03,0xc0,0x14,0xc4,0x05,0x10,0x80,0x00,0x00,0xff,0xff,0x7f]

buffer_atomic_sub_u64 v[254:255], off, s[8:11], s3 offset:8388607
// GFX13: buffer_atomic_sub_u64 v[254:255], off, s[8:11], s3 offset:8388607 ; encoding: [0x03,0xc0,0x14,0xc4,0xfe,0x10,0x80,0x00,0x00,0xff,0xff,0x7f]

buffer_atomic_sub_u64 v[5:6], off, s[12:15], s3 offset:8388607
// GFX1250-ERR: :[[@LINE-1]]:23: error: invalid operand for instruction
// GFX13: buffer_atomic_sub_u64 v[5:6], off, s[12:15], s3 offset:8388607 ; encoding: [0x03,0xc0,0x14,0xc4,0x05,0x18,0x80,0x00,0x00,0xff,0xff,0x7f]

buffer_atomic_sub_u64 v[5:6], off, s[96:99], s3 offset:8388607
// GFX1250-ERR: :[[@LINE-1]]:23: error: invalid operand for instruction
// GFX13: buffer_atomic_sub_u64 v[5:6], off, s[96:99], s3 offset:8388607 ; encoding: [0x03,0xc0,0x14,0xc4,0x05,0xc0,0x80,0x00,0x00,0xff,0xff,0x7f]

buffer_atomic_sub_u64 v[5:6], off, s[8:11], s101 offset:8388607
// GFX1250-ERR: :[[@LINE-1]]:23: error: invalid operand for instruction
// GFX13: buffer_atomic_sub_u64 v[5:6], off, s[8:11], s101 offset:8388607 ; encoding: [0x65,0xc0,0x14,0xc4,0x05,0x10,0x80,0x00,0x00,0xff,0xff,0x7f]

buffer_atomic_sub_u64 v[5:6], off, s[8:11], m0 offset:8388607
// GFX1250-ERR: :[[@LINE-1]]:23: error: invalid operand for instruction
// GFX13: buffer_atomic_sub_u64 v[5:6], off, s[8:11], m0 offset:8388607 ; encoding: [0x7d,0xc0,0x14,0xc4,0x05,0x10,0x80,0x00,0x00,0xff,0xff,0x7f]

buffer_atomic_sub_u64 v[5:6], v0, s[8:11], s3 idxen offset:8388607
// GFX1250-ERR: :[[@LINE-1]]:23: error: invalid operand for instruction
// GFX13: buffer_atomic_sub_u64 v[5:6], v0, s[8:11], s3 idxen offset:8388607 ; encoding: [0x03,0xc0,0x14,0xc4,0x05,0x10,0x80,0x80,0x00,0xff,0xff,0x7f]

buffer_atomic_sub_u64 v[5:6], v0, s[8:11], s3 offen offset:8388607
// GFX1250-ERR: :[[@LINE-1]]:23: error: invalid operand for instruction
// GFX13: buffer_atomic_sub_u64 v[5:6], v0, s[8:11], s3 offen offset:8388607 ; encoding: [0x03,0xc0,0x14,0xc4,0x05,0x10,0x80,0x40,0x00,0xff,0xff,0x7f]

buffer_atomic_sub_u64 v[5:6], off, s[8:11], s3
// GFX1250-ERR: :[[@LINE-1]]:23: error: invalid operand for instruction
// GFX13: buffer_atomic_sub_u64 v[5:6], off, s[8:11], s3 ; encoding: [0x03,0xc0,0x14,0xc4,0x05,0x10,0x80,0x00,0x00,0x00,0x00,0x00]

buffer_atomic_sub_u64 v[5:6], off, s[8:11], s3 offset:0
// GFX1250-ERR: :[[@LINE-1]]:23: error: invalid operand for instruction
// GFX13: buffer_atomic_sub_u64 v[5:6], off, s[8:11], s3 ; encoding: [0x03,0xc0,0x14,0xc4,0x05,0x10,0x80,0x00,0x00,0x00,0x00,0x00]

buffer_atomic_sub_u64 v[5:6], off, s[8:11], s3 offset:7
// GFX1250-ERR: :[[@LINE-1]]:23: error: invalid operand for instruction
// GFX13: buffer_atomic_sub_u64 v[5:6], off, s[8:11], s3 offset:7 ; encoding: [0x03,0xc0,0x14,0xc4,0x05,0x10,0x80,0x00,0x00,0x07,0x00,0x00]

buffer_atomic_sub_u64 v[5:6], off, s[8:11], s3 offset:8388607 th:TH_ATOMIC_RETURN
// GFX1250-ERR: :[[@LINE-1]]:23: error: invalid operand for instruction
// GFX13: buffer_atomic_sub_u64 v[5:6], off, s[8:11], s3 offset:8388607 th:TH_ATOMIC_RETURN ; encoding: [0x03,0xc0,0x14,0xc4,0x05,0x10,0x90,0x00,0x00,0xff,0xff,0x7f]

buffer_atomic_sub_u64 v[5:6], off, s[8:11], s3 offset:8388607 th:TH_ATOMIC_RT_RETURN scope:SCOPE_SE
// GFX1250-ERR: :[[@LINE-1]]:23: error: invalid operand for instruction
// GFX13: buffer_atomic_sub_u64 v[5:6], off, s[8:11], s3 offset:8388607 th:TH_ATOMIC_RETURN scope:SCOPE_SE ; encoding: [0x03,0xc0,0x14,0xc4,0x05,0x10,0x94,0x00,0x00,0xff,0xff,0x7f]

buffer_atomic_sub_u64 v[5:6], off, s[8:11], s3 offset:8388607 th:TH_ATOMIC_CASCADE_NT scope:SCOPE_DEV
// GFX1250-ERR: :[[@LINE-1]]:23: error: invalid operand for instruction
// GFX13: buffer_atomic_sub_u64 v[5:6], off, s[8:11], s3 offset:8388607 th:TH_ATOMIC_CASCADE_NT scope:SCOPE_DEV ; encoding: [0x03,0xc0,0x14,0xc4,0x05,0x10,0xe8,0x00,0x00,0xff,0xff,0x7f]

buffer_atomic_swap_b32 v5, off, s[8:11], s3 offset:8388607
// GFX13: buffer_atomic_swap_b32 v5, off, s[8:11], s3 offset:8388607 ; encoding: [0x03,0x00,0x0c,0xc4,0x05,0x10,0x80,0x00,0x00,0xff,0xff,0x7f]

buffer_atomic_swap_b32 v255, off, s[8:11], s3 offset:8388607
// GFX13: buffer_atomic_swap_b32 v255, off, s[8:11], s3 offset:8388607 ; encoding: [0x03,0x00,0x0c,0xc4,0xff,0x10,0x80,0x00,0x00,0xff,0xff,0x7f]
	;; [unrolled: 3-line block ×6, first 2 shown]

buffer_atomic_swap_b32 v5, v0, s[8:11], s3 idxen offset:8388607
// GFX13: buffer_atomic_swap_b32 v5, v0, s[8:11], s3 idxen offset:8388607 ; encoding: [0x03,0x00,0x0c,0xc4,0x05,0x10,0x80,0x80,0x00,0xff,0xff,0x7f]

buffer_atomic_swap_b32 v5, v0, s[8:11], s3 offen offset:8388607
// GFX13: buffer_atomic_swap_b32 v5, v0, s[8:11], s3 offen offset:8388607 ; encoding: [0x03,0x00,0x0c,0xc4,0x05,0x10,0x80,0x40,0x00,0xff,0xff,0x7f]

buffer_atomic_swap_b32 v5, off, s[8:11], s3
// GFX13: buffer_atomic_swap_b32 v5, off, s[8:11], s3 ; encoding: [0x03,0x00,0x0c,0xc4,0x05,0x10,0x80,0x00,0x00,0x00,0x00,0x00]

buffer_atomic_swap_b32 v5, off, s[8:11], s3 offset:0
// GFX13: buffer_atomic_swap_b32 v5, off, s[8:11], s3 ; encoding: [0x03,0x00,0x0c,0xc4,0x05,0x10,0x80,0x00,0x00,0x00,0x00,0x00]

buffer_atomic_swap_b32 v5, off, s[8:11], s3 offset:7
// GFX13: buffer_atomic_swap_b32 v5, off, s[8:11], s3 offset:7 ; encoding: [0x03,0x00,0x0c,0xc4,0x05,0x10,0x80,0x00,0x00,0x07,0x00,0x00]

buffer_atomic_swap_b32 v5, off, s[8:11], s3 offset:8388607 th:TH_ATOMIC_RETURN
// GFX13: buffer_atomic_swap_b32 v5, off, s[8:11], s3 offset:8388607 th:TH_ATOMIC_RETURN ; encoding: [0x03,0x00,0x0c,0xc4,0x05,0x10,0x90,0x00,0x00,0xff,0xff,0x7f]

buffer_atomic_swap_b32 v5, off, s[8:11], s3 offset:8388607 th:TH_ATOMIC_RT_RETURN scope:SCOPE_SE
// GFX13: buffer_atomic_swap_b32 v5, off, s[8:11], s3 offset:8388607 th:TH_ATOMIC_RETURN scope:SCOPE_SE ; encoding: [0x03,0x00,0x0c,0xc4,0x05,0x10,0x94,0x00,0x00,0xff,0xff,0x7f]

buffer_atomic_swap_b32 v5, off, s[8:11], s3 offset:8388607 th:TH_ATOMIC_CASCADE_NT scope:SCOPE_DEV
// GFX13: buffer_atomic_swap_b32 v5, off, s[8:11], s3 offset:8388607 th:TH_ATOMIC_CASCADE_NT scope:SCOPE_DEV ; encoding: [0x03,0x00,0x0c,0xc4,0x05,0x10,0xe8,0x00,0x00,0xff,0xff,0x7f]

buffer_atomic_swap_b64 v[5:6], off, s[8:11], s3 offset:8388607
// GFX1250-ERR: :[[@LINE-1]]:24: error: invalid operand for instruction
// GFX13: buffer_atomic_swap_b64 v[5:6], off, s[8:11], s3 offset:8388607 ; encoding: [0x03,0x00,0x14,0xc4,0x05,0x10,0x80,0x00,0x00,0xff,0xff,0x7f]

buffer_atomic_swap_b64 v[254:255], off, s[8:11], s3 offset:8388607
// GFX13: buffer_atomic_swap_b64 v[254:255], off, s[8:11], s3 offset:8388607 ; encoding: [0x03,0x00,0x14,0xc4,0xfe,0x10,0x80,0x00,0x00,0xff,0xff,0x7f]

buffer_atomic_swap_b64 v[5:6], off, s[12:15], s3 offset:8388607
// GFX1250-ERR: :[[@LINE-1]]:24: error: invalid operand for instruction
// GFX13: buffer_atomic_swap_b64 v[5:6], off, s[12:15], s3 offset:8388607 ; encoding: [0x03,0x00,0x14,0xc4,0x05,0x18,0x80,0x00,0x00,0xff,0xff,0x7f]

buffer_atomic_swap_b64 v[5:6], off, s[96:99], s3 offset:8388607
// GFX1250-ERR: :[[@LINE-1]]:24: error: invalid operand for instruction
	;; [unrolled: 4-line block ×4, first 2 shown]
// GFX13: buffer_atomic_swap_b64 v[5:6], off, s[8:11], m0 offset:8388607 ; encoding: [0x7d,0x00,0x14,0xc4,0x05,0x10,0x80,0x00,0x00,0xff,0xff,0x7f]

buffer_atomic_swap_b64 v[5:6], v0, s[8:11], s3 idxen offset:8388607
// GFX1250-ERR: :[[@LINE-1]]:24: error: invalid operand for instruction
// GFX13: buffer_atomic_swap_b64 v[5:6], v0, s[8:11], s3 idxen offset:8388607 ; encoding: [0x03,0x00,0x14,0xc4,0x05,0x10,0x80,0x80,0x00,0xff,0xff,0x7f]

buffer_atomic_swap_b64 v[5:6], v0, s[8:11], s3 offen offset:8388607
// GFX1250-ERR: :[[@LINE-1]]:24: error: invalid operand for instruction
// GFX13: buffer_atomic_swap_b64 v[5:6], v0, s[8:11], s3 offen offset:8388607 ; encoding: [0x03,0x00,0x14,0xc4,0x05,0x10,0x80,0x40,0x00,0xff,0xff,0x7f]

buffer_atomic_swap_b64 v[5:6], off, s[8:11], s3
// GFX1250-ERR: :[[@LINE-1]]:24: error: invalid operand for instruction
// GFX13: buffer_atomic_swap_b64 v[5:6], off, s[8:11], s3 ; encoding: [0x03,0x00,0x14,0xc4,0x05,0x10,0x80,0x00,0x00,0x00,0x00,0x00]

buffer_atomic_swap_b64 v[5:6], off, s[8:11], s3 offset:0
// GFX1250-ERR: :[[@LINE-1]]:24: error: invalid operand for instruction
// GFX13: buffer_atomic_swap_b64 v[5:6], off, s[8:11], s3 ; encoding: [0x03,0x00,0x14,0xc4,0x05,0x10,0x80,0x00,0x00,0x00,0x00,0x00]

buffer_atomic_swap_b64 v[5:6], off, s[8:11], s3 offset:7
// GFX1250-ERR: :[[@LINE-1]]:24: error: invalid operand for instruction
// GFX13: buffer_atomic_swap_b64 v[5:6], off, s[8:11], s3 offset:7 ; encoding: [0x03,0x00,0x14,0xc4,0x05,0x10,0x80,0x00,0x00,0x07,0x00,0x00]

buffer_atomic_swap_b64 v[5:6], off, s[8:11], s3 offset:8388607 th:TH_ATOMIC_RETURN
// GFX1250-ERR: :[[@LINE-1]]:24: error: invalid operand for instruction
// GFX13: buffer_atomic_swap_b64 v[5:6], off, s[8:11], s3 offset:8388607 th:TH_ATOMIC_RETURN ; encoding: [0x03,0x00,0x14,0xc4,0x05,0x10,0x90,0x00,0x00,0xff,0xff,0x7f]

buffer_atomic_swap_b64 v[5:6], off, s[8:11], s3 offset:8388607 th:TH_ATOMIC_RT_RETURN scope:SCOPE_SE
// GFX1250-ERR: :[[@LINE-1]]:24: error: invalid operand for instruction
// GFX13: buffer_atomic_swap_b64 v[5:6], off, s[8:11], s3 offset:8388607 th:TH_ATOMIC_RETURN scope:SCOPE_SE ; encoding: [0x03,0x00,0x14,0xc4,0x05,0x10,0x94,0x00,0x00,0xff,0xff,0x7f]

buffer_atomic_swap_b64 v[5:6], off, s[8:11], s3 offset:8388607 th:TH_ATOMIC_CASCADE_NT scope:SCOPE_DEV
// GFX1250-ERR: :[[@LINE-1]]:24: error: invalid operand for instruction
// GFX13: buffer_atomic_swap_b64 v[5:6], off, s[8:11], s3 offset:8388607 th:TH_ATOMIC_CASCADE_NT scope:SCOPE_DEV ; encoding: [0x03,0x00,0x14,0xc4,0x05,0x10,0xe8,0x00,0x00,0xff,0xff,0x7f]

buffer_atomic_xor_b32 v5, off, s[8:11], s3 offset:8388607
// GFX13: buffer_atomic_xor_b32 v5, off, s[8:11], s3 offset:8388607 ; encoding: [0x03,0xc0,0x0e,0xc4,0x05,0x10,0x80,0x00,0x00,0xff,0xff,0x7f]

buffer_atomic_xor_b32 v255, off, s[8:11], s3 offset:8388607
// GFX13: buffer_atomic_xor_b32 v255, off, s[8:11], s3 offset:8388607 ; encoding: [0x03,0xc0,0x0e,0xc4,0xff,0x10,0x80,0x00,0x00,0xff,0xff,0x7f]
	;; [unrolled: 3-line block ×6, first 2 shown]

buffer_atomic_xor_b32 v5, v0, s[8:11], s3 idxen offset:8388607
// GFX13: buffer_atomic_xor_b32 v5, v0, s[8:11], s3 idxen offset:8388607 ; encoding: [0x03,0xc0,0x0e,0xc4,0x05,0x10,0x80,0x80,0x00,0xff,0xff,0x7f]

buffer_atomic_xor_b32 v5, v0, s[8:11], s3 offen offset:8388607
// GFX13: buffer_atomic_xor_b32 v5, v0, s[8:11], s3 offen offset:8388607 ; encoding: [0x03,0xc0,0x0e,0xc4,0x05,0x10,0x80,0x40,0x00,0xff,0xff,0x7f]

buffer_atomic_xor_b32 v5, off, s[8:11], s3
// GFX13: buffer_atomic_xor_b32 v5, off, s[8:11], s3 ; encoding: [0x03,0xc0,0x0e,0xc4,0x05,0x10,0x80,0x00,0x00,0x00,0x00,0x00]

buffer_atomic_xor_b32 v5, off, s[8:11], s3 offset:0
// GFX13: buffer_atomic_xor_b32 v5, off, s[8:11], s3 ; encoding: [0x03,0xc0,0x0e,0xc4,0x05,0x10,0x80,0x00,0x00,0x00,0x00,0x00]

buffer_atomic_xor_b32 v5, off, s[8:11], s3 offset:7
// GFX13: buffer_atomic_xor_b32 v5, off, s[8:11], s3 offset:7 ; encoding: [0x03,0xc0,0x0e,0xc4,0x05,0x10,0x80,0x00,0x00,0x07,0x00,0x00]

buffer_atomic_xor_b32 v5, off, s[8:11], s3 offset:8388607 th:TH_ATOMIC_RETURN
// GFX13: buffer_atomic_xor_b32 v5, off, s[8:11], s3 offset:8388607 th:TH_ATOMIC_RETURN ; encoding: [0x03,0xc0,0x0e,0xc4,0x05,0x10,0x90,0x00,0x00,0xff,0xff,0x7f]

buffer_atomic_xor_b32 v5, off, s[8:11], s3 offset:8388607 th:TH_ATOMIC_RT_RETURN scope:SCOPE_SE
// GFX13: buffer_atomic_xor_b32 v5, off, s[8:11], s3 offset:8388607 th:TH_ATOMIC_RETURN scope:SCOPE_SE ; encoding: [0x03,0xc0,0x0e,0xc4,0x05,0x10,0x94,0x00,0x00,0xff,0xff,0x7f]

buffer_atomic_xor_b32 v5, off, s[8:11], s3 offset:8388607 th:TH_ATOMIC_CASCADE_NT scope:SCOPE_DEV
// GFX13: buffer_atomic_xor_b32 v5, off, s[8:11], s3 offset:8388607 th:TH_ATOMIC_CASCADE_NT scope:SCOPE_DEV ; encoding: [0x03,0xc0,0x0e,0xc4,0x05,0x10,0xe8,0x00,0x00,0xff,0xff,0x7f]

buffer_atomic_xor_b64 v[5:6], off, s[8:11], s3 offset:8388607
// GFX1250-ERR: :[[@LINE-1]]:23: error: invalid operand for instruction
// GFX13: buffer_atomic_xor_b64 v[5:6], off, s[8:11], s3 offset:8388607 ; encoding: [0x03,0xc0,0x16,0xc4,0x05,0x10,0x80,0x00,0x00,0xff,0xff,0x7f]

buffer_atomic_xor_b64 v[254:255], off, s[8:11], s3 offset:8388607
// GFX13: buffer_atomic_xor_b64 v[254:255], off, s[8:11], s3 offset:8388607 ; encoding: [0x03,0xc0,0x16,0xc4,0xfe,0x10,0x80,0x00,0x00,0xff,0xff,0x7f]

buffer_atomic_xor_b64 v[5:6], off, s[12:15], s3 offset:8388607
// GFX1250-ERR: :[[@LINE-1]]:23: error: invalid operand for instruction
// GFX13: buffer_atomic_xor_b64 v[5:6], off, s[12:15], s3 offset:8388607 ; encoding: [0x03,0xc0,0x16,0xc4,0x05,0x18,0x80,0x00,0x00,0xff,0xff,0x7f]

buffer_atomic_xor_b64 v[5:6], off, s[96:99], s3 offset:8388607
// GFX1250-ERR: :[[@LINE-1]]:23: error: invalid operand for instruction
	;; [unrolled: 4-line block ×4, first 2 shown]
// GFX13: buffer_atomic_xor_b64 v[5:6], off, s[8:11], m0 offset:8388607 ; encoding: [0x7d,0xc0,0x16,0xc4,0x05,0x10,0x80,0x00,0x00,0xff,0xff,0x7f]

buffer_atomic_xor_b64 v[5:6], v0, s[8:11], s3 idxen offset:8388607
// GFX1250-ERR: :[[@LINE-1]]:23: error: invalid operand for instruction
// GFX13: buffer_atomic_xor_b64 v[5:6], v0, s[8:11], s3 idxen offset:8388607 ; encoding: [0x03,0xc0,0x16,0xc4,0x05,0x10,0x80,0x80,0x00,0xff,0xff,0x7f]

buffer_atomic_xor_b64 v[5:6], v0, s[8:11], s3 offen offset:8388607
// GFX1250-ERR: :[[@LINE-1]]:23: error: invalid operand for instruction
// GFX13: buffer_atomic_xor_b64 v[5:6], v0, s[8:11], s3 offen offset:8388607 ; encoding: [0x03,0xc0,0x16,0xc4,0x05,0x10,0x80,0x40,0x00,0xff,0xff,0x7f]

buffer_atomic_xor_b64 v[5:6], off, s[8:11], s3
// GFX1250-ERR: :[[@LINE-1]]:23: error: invalid operand for instruction
// GFX13: buffer_atomic_xor_b64 v[5:6], off, s[8:11], s3 ; encoding: [0x03,0xc0,0x16,0xc4,0x05,0x10,0x80,0x00,0x00,0x00,0x00,0x00]

buffer_atomic_xor_b64 v[5:6], off, s[8:11], s3 offset:0
// GFX1250-ERR: :[[@LINE-1]]:23: error: invalid operand for instruction
// GFX13: buffer_atomic_xor_b64 v[5:6], off, s[8:11], s3 ; encoding: [0x03,0xc0,0x16,0xc4,0x05,0x10,0x80,0x00,0x00,0x00,0x00,0x00]

buffer_atomic_xor_b64 v[5:6], off, s[8:11], s3 offset:7
// GFX1250-ERR: :[[@LINE-1]]:23: error: invalid operand for instruction
// GFX13: buffer_atomic_xor_b64 v[5:6], off, s[8:11], s3 offset:7 ; encoding: [0x03,0xc0,0x16,0xc4,0x05,0x10,0x80,0x00,0x00,0x07,0x00,0x00]

buffer_atomic_xor_b64 v[5:6], off, s[8:11], s3 offset:8388607 th:TH_ATOMIC_RETURN
// GFX1250-ERR: :[[@LINE-1]]:23: error: invalid operand for instruction
// GFX13: buffer_atomic_xor_b64 v[5:6], off, s[8:11], s3 offset:8388607 th:TH_ATOMIC_RETURN ; encoding: [0x03,0xc0,0x16,0xc4,0x05,0x10,0x90,0x00,0x00,0xff,0xff,0x7f]

buffer_atomic_xor_b64 v[5:6], off, s[8:11], s3 offset:8388607 th:TH_ATOMIC_RT_RETURN scope:SCOPE_SE
// GFX1250-ERR: :[[@LINE-1]]:23: error: invalid operand for instruction
// GFX13: buffer_atomic_xor_b64 v[5:6], off, s[8:11], s3 offset:8388607 th:TH_ATOMIC_RETURN scope:SCOPE_SE ; encoding: [0x03,0xc0,0x16,0xc4,0x05,0x10,0x94,0x00,0x00,0xff,0xff,0x7f]

buffer_atomic_xor_b64 v[5:6], off, s[8:11], s3 offset:8388607 th:TH_ATOMIC_CASCADE_NT scope:SCOPE_DEV
// GFX1250-ERR: :[[@LINE-1]]:23: error: invalid operand for instruction
// GFX13: buffer_atomic_xor_b64 v[5:6], off, s[8:11], s3 offset:8388607 th:TH_ATOMIC_CASCADE_NT scope:SCOPE_DEV ; encoding: [0x03,0xc0,0x16,0xc4,0x05,0x10,0xe8,0x00,0x00,0xff,0xff,0x7f]
